;; amdgpu-corpus repo=ROCm/rocFFT kind=compiled arch=gfx906 opt=O3
	.text
	.amdgcn_target "amdgcn-amd-amdhsa--gfx906"
	.amdhsa_code_object_version 6
	.protected	bluestein_single_back_len1452_dim1_dp_op_CI_CI ; -- Begin function bluestein_single_back_len1452_dim1_dp_op_CI_CI
	.globl	bluestein_single_back_len1452_dim1_dp_op_CI_CI
	.p2align	8
	.type	bluestein_single_back_len1452_dim1_dp_op_CI_CI,@function
bluestein_single_back_len1452_dim1_dp_op_CI_CI: ; @bluestein_single_back_len1452_dim1_dp_op_CI_CI
; %bb.0:
	s_load_dwordx4 s[16:19], s[4:5], 0x28
	v_mul_u32_u24_e32 v1, 0x1f1, v0
	v_add_u32_sdwa v200, s6, v1 dst_sel:DWORD dst_unused:UNUSED_PAD src0_sel:DWORD src1_sel:WORD_1
	v_mov_b32_e32 v201, 0
	s_waitcnt lgkmcnt(0)
	v_cmp_gt_u64_e32 vcc, s[16:17], v[200:201]
	s_and_saveexec_b64 s[0:1], vcc
	s_cbranch_execz .LBB0_18
; %bb.1:
	s_load_dwordx4 s[0:3], s[4:5], 0x18
	s_load_dwordx4 s[12:15], s[4:5], 0x0
	s_mov_b32 s24, 0xf8bb580b
	s_mov_b32 s22, 0xbb3a28a1
	;; [unrolled: 1-line block ×3, first 2 shown]
	s_waitcnt lgkmcnt(0)
	s_load_dwordx4 s[8:11], s[0:1], 0x0
	s_movk_i32 s0, 0x84
	v_mul_lo_u16_sdwa v1, v1, s0 dst_sel:DWORD dst_unused:UNUSED_PAD src0_sel:WORD_1 src1_sel:DWORD
	v_sub_u16_e32 v202, v0, v1
	v_lshlrev_b32_e32 v201, 4, v202
	s_waitcnt lgkmcnt(0)
	v_mad_u64_u32 v[0:1], s[0:1], s10, v200, 0
	v_mad_u64_u32 v[2:3], s[0:1], s8, v202, 0
	v_add_co_u32_e64 v210, s[6:7], s12, v201
	v_mad_u64_u32 v[4:5], s[0:1], s11, v200, v[1:2]
	s_mov_b32 s25, 0xbfe14ced
	s_mov_b32 s23, 0xbfe82f19
	v_mad_u64_u32 v[5:6], s[0:1], s9, v202, v[3:4]
	v_mov_b32_e32 v1, v4
	v_lshlrev_b64 v[0:1], 4, v[0:1]
	v_mov_b32_e32 v6, s19
	v_mov_b32_e32 v3, v5
	v_add_co_u32_e32 v4, vcc, s18, v0
	v_addc_co_u32_e32 v5, vcc, v6, v1, vcc
	v_lshlrev_b64 v[0:1], 4, v[2:3]
	v_mov_b32_e32 v2, s13
	v_add_co_u32_e32 v0, vcc, v4, v0
	s_mul_i32 s0, s9, 0x840
	s_mul_hi_u32 s1, s8, 0x840
	v_addc_co_u32_e32 v1, vcc, v5, v1, vcc
	v_addc_co_u32_e64 v88, vcc, 0, v2, s[6:7]
	s_add_i32 s0, s1, s0
	s_mul_i32 s1, s8, 0x840
	v_mov_b32_e32 v3, s0
	v_add_co_u32_e32 v2, vcc, s1, v0
	v_addc_co_u32_e32 v3, vcc, v1, v3, vcc
	global_load_dwordx4 v[44:47], v[0:1], off
	global_load_dwordx4 v[48:51], v[2:3], off
	global_load_dwordx4 v[36:39], v201, s[12:13]
	global_load_dwordx4 v[16:19], v201, s[12:13] offset:2112
	v_mov_b32_e32 v1, s0
	v_add_co_u32_e32 v0, vcc, s1, v2
	v_addc_co_u32_e32 v1, vcc, v3, v1, vcc
	s_movk_i32 s8, 0x1000
	v_add_co_u32_e32 v2, vcc, s8, v210
	v_addc_co_u32_e32 v3, vcc, 0, v88, vcc
	global_load_dwordx4 v[52:55], v[0:1], off
	v_mov_b32_e32 v4, s0
	v_add_co_u32_e32 v0, vcc, s1, v0
	v_addc_co_u32_e32 v1, vcc, v1, v4, vcc
	global_load_dwordx4 v[24:27], v[2:3], off offset:128
	global_load_dwordx4 v[4:7], v[2:3], off offset:2240
	v_mov_b32_e32 v3, s0
	v_add_co_u32_e32 v2, vcc, s1, v0
	v_addc_co_u32_e32 v3, vcc, v1, v3, vcc
	s_movk_i32 s8, 0x2000
	global_load_dwordx4 v[56:59], v[0:1], off
	global_load_dwordx4 v[60:63], v[2:3], off
	v_add_co_u32_e32 v0, vcc, s8, v210
	v_addc_co_u32_e32 v1, vcc, 0, v88, vcc
	v_mov_b32_e32 v8, s0
	v_add_co_u32_e32 v2, vcc, s1, v2
	v_addc_co_u32_e32 v3, vcc, v3, v8, vcc
	global_load_dwordx4 v[64:67], v[2:3], off
	global_load_dwordx4 v[28:31], v[0:1], off offset:256
	global_load_dwordx4 v[8:11], v[0:1], off offset:2368
	v_mov_b32_e32 v1, s0
	v_add_co_u32_e32 v0, vcc, s1, v2
	v_addc_co_u32_e32 v1, vcc, v3, v1, vcc
	s_movk_i32 s8, 0x3000
	v_add_co_u32_e32 v2, vcc, s8, v210
	v_addc_co_u32_e32 v3, vcc, 0, v88, vcc
	global_load_dwordx4 v[68:71], v[0:1], off
	v_mov_b32_e32 v12, s0
	v_add_co_u32_e32 v0, vcc, s1, v0
	v_addc_co_u32_e32 v1, vcc, v1, v12, vcc
	global_load_dwordx4 v[72:75], v[0:1], off
	global_load_dwordx4 v[32:35], v[2:3], off offset:384
	global_load_dwordx4 v[12:15], v[2:3], off offset:2496
	v_mov_b32_e32 v2, s0
	v_add_co_u32_e32 v0, vcc, s1, v0
	v_addc_co_u32_e32 v1, vcc, v1, v2, vcc
	s_movk_i32 s8, 0x4000
	v_add_co_u32_e32 v20, vcc, s8, v210
	v_addc_co_u32_e32 v21, vcc, 0, v88, vcc
	v_add_co_u32_e32 v22, vcc, s1, v0
	v_addc_co_u32_e32 v23, vcc, v1, v2, vcc
	global_load_dwordx4 v[76:79], v[0:1], off
	global_load_dwordx4 v[80:83], v[22:23], off
	global_load_dwordx4 v[40:43], v[20:21], off offset:512
	s_nop 0
	global_load_dwordx4 v[0:3], v[20:21], off offset:2624
	v_mov_b32_e32 v21, s0
	v_add_co_u32_e32 v20, vcc, s1, v22
	v_addc_co_u32_e32 v21, vcc, v23, v21, vcc
	s_movk_i32 s0, 0x5000
	global_load_dwordx4 v[84:87], v[20:21], off
	v_add_co_u32_e32 v20, vcc, s0, v210
	v_addc_co_u32_e32 v21, vcc, 0, v88, vcc
	global_load_dwordx4 v[20:23], v[20:21], off offset:640
	s_waitcnt vmcnt(19)
	v_mul_f64 v[88:89], v[46:47], v[38:39]
	v_mul_f64 v[90:91], v[44:45], v[38:39]
	s_waitcnt vmcnt(18)
	v_mul_f64 v[92:93], v[50:51], v[18:19]
	v_mul_f64 v[94:95], v[48:49], v[18:19]
	s_load_dwordx4 s[8:11], s[2:3], 0x0
	s_mov_b32 s18, 0x43842ef
	s_mov_b32 s3, 0xbfed1bb4
	;; [unrolled: 1-line block ×3, first 2 shown]
	v_fma_f64 v[44:45], v[44:45], v[36:37], v[88:89]
	v_fma_f64 v[46:47], v[46:47], v[36:37], -v[90:91]
	v_fma_f64 v[48:49], v[48:49], v[16:17], v[92:93]
	v_fma_f64 v[50:51], v[50:51], v[16:17], -v[94:95]
	s_mov_b32 s19, 0xbfefac9e
	s_mov_b32 s31, 0xbfd207e7
	s_mov_b32 s20, 0x8764f0ba
	s_mov_b32 s16, 0xd9c712b6
	s_waitcnt vmcnt(16)
	v_mul_f64 v[96:97], v[54:55], v[26:27]
	v_mul_f64 v[98:99], v[52:53], v[26:27]
	s_mov_b32 s0, 0x640f44db
	s_mov_b32 s26, 0x7f775887
	;; [unrolled: 1-line block ×6, first 2 shown]
	v_fma_f64 v[52:53], v[52:53], v[24:25], v[96:97]
	v_fma_f64 v[54:55], v[54:55], v[24:25], -v[98:99]
	ds_write_b128 v201, v[44:47]
	ds_write_b128 v201, v[48:51] offset:2112
	ds_write_b128 v201, v[52:55] offset:4224
	s_waitcnt vmcnt(14)
	v_mul_f64 v[44:45], v[58:59], v[6:7]
	s_waitcnt vmcnt(11)
	v_mul_f64 v[48:49], v[62:63], v[30:31]
	v_mul_f64 v[50:51], v[60:61], v[30:31]
	s_waitcnt vmcnt(10)
	v_mul_f64 v[52:53], v[66:67], v[10:11]
	v_mul_f64 v[54:55], v[64:65], v[10:11]
	;; [unrolled: 1-line block ×3, first 2 shown]
	s_mov_b32 s27, 0xbfe4f49e
	s_mov_b32 s29, 0xbfeeb42a
	v_fma_f64 v[44:45], v[56:57], v[4:5], v[44:45]
	v_fma_f64 v[48:49], v[60:61], v[28:29], v[48:49]
	v_fma_f64 v[50:51], v[62:63], v[28:29], -v[50:51]
	v_fma_f64 v[52:53], v[64:65], v[8:9], v[52:53]
	v_fma_f64 v[54:55], v[66:67], v[8:9], -v[54:55]
	v_fma_f64 v[46:47], v[58:59], v[4:5], -v[46:47]
	s_mov_b32 s39, 0x3fd207e7
	s_mov_b32 s38, s30
	;; [unrolled: 1-line block ×4, first 2 shown]
	s_waitcnt vmcnt(7)
	v_mul_f64 v[88:89], v[70:71], v[34:35]
	v_mul_f64 v[90:91], v[68:69], v[34:35]
	s_waitcnt vmcnt(6)
	v_mul_f64 v[60:61], v[74:75], v[14:15]
	v_mul_f64 v[62:63], v[72:73], v[14:15]
	s_mov_b32 s35, 0x3fe14ced
	s_mov_b32 s34, s24
	s_load_dwordx2 s[4:5], s[4:5], 0x38
	v_fma_f64 v[56:57], v[68:69], v[32:33], v[88:89]
	v_fma_f64 v[58:59], v[70:71], v[32:33], -v[90:91]
	v_fma_f64 v[60:61], v[72:73], v[12:13], v[60:61]
	v_fma_f64 v[62:63], v[74:75], v[12:13], -v[62:63]
	s_waitcnt vmcnt(3)
	v_mul_f64 v[64:65], v[78:79], v[42:43]
	v_mul_f64 v[66:67], v[76:77], v[42:43]
	s_waitcnt vmcnt(2)
	v_mul_f64 v[68:69], v[82:83], v[2:3]
	v_mul_f64 v[70:71], v[80:81], v[2:3]
	v_fma_f64 v[64:65], v[76:77], v[40:41], v[64:65]
	v_fma_f64 v[66:67], v[78:79], v[40:41], -v[66:67]
	v_fma_f64 v[68:69], v[80:81], v[0:1], v[68:69]
	v_fma_f64 v[70:71], v[82:83], v[0:1], -v[70:71]
	s_waitcnt vmcnt(0)
	v_mul_f64 v[88:89], v[86:87], v[22:23]
	v_mul_f64 v[90:91], v[84:85], v[22:23]
	v_fma_f64 v[72:73], v[84:85], v[20:21], v[88:89]
	v_fma_f64 v[74:75], v[86:87], v[20:21], -v[90:91]
	ds_write_b128 v201, v[44:47] offset:6336
	ds_write_b128 v201, v[48:51] offset:8448
	;; [unrolled: 1-line block ×8, first 2 shown]
	s_waitcnt lgkmcnt(0)
	s_barrier
	ds_read_b128 v[48:51], v201
	ds_read_b128 v[52:55], v201 offset:2112
	ds_read_b128 v[56:59], v201 offset:4224
	;; [unrolled: 1-line block ×10, first 2 shown]
	s_waitcnt lgkmcnt(9)
	v_add_f64 v[44:45], v[48:49], v[52:53]
	v_add_f64 v[46:47], v[50:51], v[54:55]
	s_waitcnt lgkmcnt(0)
	v_add_f64 v[94:95], v[54:55], -v[88:89]
	v_add_f64 v[96:97], v[52:53], v[86:87]
	v_add_f64 v[114:115], v[58:59], v[92:93]
	;; [unrolled: 1-line block ×3, first 2 shown]
	s_barrier
	v_add_f64 v[44:45], v[44:45], v[56:57]
	v_add_f64 v[46:47], v[46:47], v[58:59]
	v_mul_f64 v[60:61], v[94:95], s[24:25]
	v_mul_f64 v[104:105], v[94:95], s[18:19]
	;; [unrolled: 1-line block ×3, first 2 shown]
	v_add_f64 v[44:45], v[44:45], v[62:63]
	v_add_f64 v[46:47], v[46:47], v[64:65]
	v_fma_f64 v[98:99], v[96:97], s[20:21], -v[60:61]
	v_fma_f64 v[102:103], v[96:97], s[20:21], v[60:61]
	v_add_f64 v[60:61], v[64:65], v[84:85]
	v_add_f64 v[64:65], v[64:65], -v[84:85]
	v_add_f64 v[44:45], v[44:45], v[66:67]
	v_add_f64 v[46:47], v[46:47], v[68:69]
	;; [unrolled: 1-line block ×11, first 2 shown]
	v_fma_f64 v[84:85], v[96:97], s[26:27], v[110:111]
	v_add_f64 v[44:45], v[44:45], v[90:91]
	v_add_f64 v[46:47], v[46:47], v[92:93]
	v_add_f64 v[92:93], v[58:59], -v[92:93]
	v_add_f64 v[58:59], v[62:63], v[82:83]
	v_add_f64 v[82:83], v[62:63], -v[82:83]
	v_add_f64 v[62:63], v[68:69], -v[80:81]
	;; [unrolled: 1-line block ×4, first 2 shown]
	v_add_f64 v[44:45], v[44:45], v[86:87]
	v_add_f64 v[86:87], v[52:53], -v[86:87]
	v_add_f64 v[46:47], v[46:47], v[88:89]
	v_add_f64 v[88:89], v[54:55], v[88:89]
	v_mul_f64 v[52:53], v[94:95], s[2:3]
	v_add_f64 v[54:55], v[68:69], v[80:81]
	v_add_f64 v[80:81], v[70:71], -v[74:75]
	v_add_f64 v[74:75], v[70:71], v[74:75]
	v_mul_f64 v[70:71], v[94:95], s[30:31]
	v_mul_f64 v[100:101], v[86:87], s[24:25]
	;; [unrolled: 1-line block ×3, first 2 shown]
	v_fma_f64 v[68:69], v[96:97], s[0:1], -v[104:105]
	v_fma_f64 v[106:107], v[96:97], s[16:17], -v[52:53]
	v_fma_f64 v[108:109], v[96:97], s[16:17], v[52:53]
	v_add_f64 v[52:53], v[66:67], v[78:79]
	v_add_f64 v[66:67], v[72:73], -v[76:77]
	v_add_f64 v[72:73], v[72:73], v[76:77]
	v_fma_f64 v[76:77], v[96:97], s[0:1], v[104:105]
	v_fma_f64 v[78:79], v[96:97], s[26:27], -v[110:111]
	v_fma_f64 v[104:105], v[96:97], s[28:29], -v[70:71]
	v_mul_f64 v[110:111], v[86:87], s[18:19]
	v_fma_f64 v[70:71], v[96:97], s[28:29], v[70:71]
	v_mul_f64 v[96:97], v[86:87], s[22:23]
	v_mul_f64 v[86:87], v[86:87], s[30:31]
	v_fma_f64 v[116:117], v[88:89], s[20:21], v[100:101]
	v_fma_f64 v[118:119], v[88:89], s[16:17], v[94:95]
	v_fma_f64 v[100:101], v[88:89], s[20:21], -v[100:101]
	v_fma_f64 v[94:95], v[88:89], s[16:17], -v[94:95]
	v_fma_f64 v[120:121], v[88:89], s[0:1], v[110:111]
	v_fma_f64 v[110:111], v[88:89], s[0:1], -v[110:111]
	v_fma_f64 v[122:123], v[88:89], s[26:27], v[96:97]
	v_fma_f64 v[96:97], v[88:89], s[26:27], -v[96:97]
	v_fma_f64 v[124:125], v[88:89], s[28:29], v[86:87]
	v_fma_f64 v[86:87], v[88:89], s[28:29], -v[86:87]
	v_add_f64 v[88:89], v[48:49], v[98:99]
	v_add_f64 v[98:99], v[50:51], v[116:117]
	;; [unrolled: 1-line block ×3, first 2 shown]
	v_mul_f64 v[118:119], v[92:93], s[2:3]
	v_mul_f64 v[126:127], v[90:91], s[2:3]
	v_add_f64 v[100:101], v[50:51], v[100:101]
	v_add_f64 v[106:107], v[48:49], v[106:107]
	;; [unrolled: 1-line block ×6, first 2 shown]
	v_fma_f64 v[128:129], v[112:113], s[16:17], -v[118:119]
	v_add_f64 v[76:77], v[48:49], v[76:77]
	v_add_f64 v[110:111], v[50:51], v[110:111]
	;; [unrolled: 1-line block ×9, first 2 shown]
	v_fma_f64 v[70:71], v[114:115], s[16:17], v[126:127]
	v_add_f64 v[50:51], v[50:51], v[86:87]
	v_add_f64 v[86:87], v[128:129], v[88:89]
	v_mul_f64 v[88:89], v[92:93], s[22:23]
	v_mul_f64 v[128:129], v[90:91], s[22:23]
	v_mul_f64 v[130:131], v[92:93], s[38:39]
	v_mul_f64 v[136:137], v[90:91], s[38:39]
	s_mov_b32 s3, 0x3fed1bb4
	v_add_f64 v[70:71], v[70:71], v[98:99]
	v_fma_f64 v[98:99], v[112:113], s[16:17], v[118:119]
	v_fma_f64 v[118:119], v[114:115], s[16:17], -v[126:127]
	v_fma_f64 v[126:127], v[112:113], s[26:27], -v[88:89]
	v_fma_f64 v[132:133], v[114:115], s[26:27], v[128:129]
	v_fma_f64 v[88:89], v[112:113], s[26:27], v[88:89]
	v_fma_f64 v[128:129], v[114:115], s[26:27], -v[128:129]
	v_fma_f64 v[134:135], v[112:113], s[28:29], -v[130:131]
	v_add_f64 v[98:99], v[98:99], v[102:103]
	v_add_f64 v[100:101], v[118:119], v[100:101]
	;; [unrolled: 1-line block ×6, first 2 shown]
	v_fma_f64 v[108:109], v[114:115], s[28:29], v[136:137]
	v_fma_f64 v[116:117], v[112:113], s[28:29], v[130:131]
	v_fma_f64 v[118:119], v[114:115], s[28:29], -v[136:137]
	v_mul_f64 v[126:127], v[92:93], s[36:37]
	v_mul_f64 v[92:93], v[92:93], s[34:35]
	;; [unrolled: 1-line block ×4, first 2 shown]
	v_add_f64 v[68:69], v[134:135], v[68:69]
	v_add_f64 v[108:109], v[108:109], v[120:121]
	;; [unrolled: 1-line block ×4, first 2 shown]
	v_fma_f64 v[116:117], v[112:113], s[0:1], -v[126:127]
	v_fma_f64 v[118:119], v[112:113], s[0:1], v[126:127]
	v_fma_f64 v[120:121], v[112:113], s[20:21], -v[92:93]
	v_fma_f64 v[126:127], v[114:115], s[0:1], v[128:129]
	v_fma_f64 v[92:93], v[112:113], s[20:21], v[92:93]
	v_fma_f64 v[112:113], v[114:115], s[0:1], -v[128:129]
	v_mul_f64 v[128:129], v[64:65], s[18:19]
	v_fma_f64 v[130:131], v[114:115], s[20:21], v[90:91]
	v_fma_f64 v[90:91], v[114:115], s[20:21], -v[90:91]
	v_mul_f64 v[114:115], v[82:83], s[18:19]
	v_add_f64 v[78:79], v[116:117], v[78:79]
	v_add_f64 v[116:117], v[126:127], v[122:123]
	;; [unrolled: 1-line block ×4, first 2 shown]
	v_fma_f64 v[112:113], v[58:59], s[0:1], -v[128:129]
	v_mul_f64 v[122:123], v[64:65], s[38:39]
	v_add_f64 v[50:51], v[90:91], v[50:51]
	v_fma_f64 v[120:121], v[60:61], s[0:1], v[114:115]
	v_mul_f64 v[90:91], v[82:83], s[38:39]
	v_add_f64 v[84:85], v[118:119], v[84:85]
	v_add_f64 v[118:119], v[130:131], v[124:125]
	;; [unrolled: 1-line block ×4, first 2 shown]
	v_fma_f64 v[92:93], v[58:59], s[0:1], v[128:129]
	v_fma_f64 v[112:113], v[60:61], s[0:1], -v[114:115]
	v_add_f64 v[70:71], v[120:121], v[70:71]
	v_fma_f64 v[114:115], v[58:59], s[28:29], -v[122:123]
	v_mul_f64 v[120:121], v[64:65], s[2:3]
	v_fma_f64 v[124:125], v[60:61], s[28:29], v[90:91]
	v_mul_f64 v[126:127], v[82:83], s[2:3]
	v_fma_f64 v[90:91], v[60:61], s[28:29], -v[90:91]
	v_add_f64 v[92:93], v[92:93], v[98:99]
	v_add_f64 v[98:99], v[112:113], v[100:101]
	v_fma_f64 v[100:101], v[58:59], s[28:29], v[122:123]
	v_add_f64 v[102:103], v[114:115], v[102:103]
	v_fma_f64 v[112:113], v[58:59], s[16:17], -v[120:121]
	v_add_f64 v[106:107], v[124:125], v[106:107]
	v_fma_f64 v[114:115], v[60:61], s[16:17], v[126:127]
	v_mul_f64 v[122:123], v[64:65], s[24:25]
	v_mul_f64 v[124:125], v[82:83], s[24:25]
	v_add_f64 v[90:91], v[90:91], v[94:95]
	v_fma_f64 v[94:95], v[58:59], s[16:17], v[120:121]
	v_add_f64 v[88:89], v[100:101], v[88:89]
	v_add_f64 v[68:69], v[112:113], v[68:69]
	v_fma_f64 v[100:101], v[60:61], s[16:17], -v[126:127]
	v_add_f64 v[108:109], v[114:115], v[108:109]
	v_fma_f64 v[112:113], v[58:59], s[20:21], -v[122:123]
	v_fma_f64 v[114:115], v[60:61], s[20:21], v[124:125]
	v_mul_f64 v[64:65], v[64:65], s[22:23]
	v_mul_f64 v[82:83], v[82:83], s[22:23]
	v_add_f64 v[76:77], v[94:95], v[76:77]
	v_fma_f64 v[94:95], v[58:59], s[20:21], v[122:123]
	v_add_f64 v[100:101], v[100:101], v[110:111]
	v_fma_f64 v[110:111], v[60:61], s[20:21], -v[124:125]
	v_add_f64 v[78:79], v[112:113], v[78:79]
	v_add_f64 v[112:113], v[114:115], v[116:117]
	v_fma_f64 v[114:115], v[58:59], s[26:27], -v[64:65]
	v_fma_f64 v[116:117], v[60:61], s[26:27], v[82:83]
	v_mul_f64 v[120:121], v[62:63], s[22:23]
	v_add_f64 v[84:85], v[94:95], v[84:85]
	v_mul_f64 v[94:95], v[56:57], s[22:23]
	v_add_f64 v[96:97], v[110:111], v[96:97]
	v_fma_f64 v[58:59], v[58:59], s[26:27], v[64:65]
	v_fma_f64 v[60:61], v[60:61], s[26:27], -v[82:83]
	v_add_f64 v[64:65], v[114:115], v[104:105]
	v_add_f64 v[82:83], v[116:117], v[118:119]
	v_fma_f64 v[104:105], v[52:53], s[26:27], -v[120:121]
	v_mul_f64 v[110:111], v[62:63], s[36:37]
	v_fma_f64 v[114:115], v[54:55], s[26:27], v[94:95]
	v_mul_f64 v[116:117], v[56:57], s[36:37]
	v_add_f64 v[48:49], v[58:59], v[48:49]
	v_add_f64 v[50:51], v[60:61], v[50:51]
	v_fma_f64 v[58:59], v[52:53], s[26:27], v[120:121]
	v_fma_f64 v[60:61], v[54:55], s[26:27], -v[94:95]
	v_add_f64 v[86:87], v[104:105], v[86:87]
	v_fma_f64 v[94:95], v[52:53], s[0:1], -v[110:111]
	v_add_f64 v[70:71], v[114:115], v[70:71]
	v_fma_f64 v[104:105], v[54:55], s[0:1], v[116:117]
	v_mul_f64 v[114:115], v[62:63], s[24:25]
	v_mul_f64 v[118:119], v[56:57], s[24:25]
	v_add_f64 v[58:59], v[58:59], v[92:93]
	v_add_f64 v[60:61], v[60:61], v[98:99]
	v_fma_f64 v[92:93], v[52:53], s[0:1], v[110:111]
	v_add_f64 v[94:95], v[94:95], v[102:103]
	v_fma_f64 v[98:99], v[54:55], s[0:1], -v[116:117]
	v_add_f64 v[102:103], v[104:105], v[106:107]
	v_fma_f64 v[104:105], v[52:53], s[20:21], -v[114:115]
	v_fma_f64 v[106:107], v[54:55], s[20:21], v[118:119]
	v_mul_f64 v[110:111], v[62:63], s[30:31]
	v_fma_f64 v[114:115], v[52:53], s[20:21], v[114:115]
	v_mul_f64 v[116:117], v[56:57], s[30:31]
	v_add_f64 v[88:89], v[92:93], v[88:89]
	v_add_f64 v[90:91], v[98:99], v[90:91]
	v_mul_f64 v[62:63], v[62:63], s[2:3]
	v_add_f64 v[92:93], v[104:105], v[68:69]
	v_add_f64 v[98:99], v[106:107], v[108:109]
	v_fma_f64 v[68:69], v[52:53], s[28:29], -v[110:111]
	v_add_f64 v[106:107], v[114:115], v[76:77]
	v_fma_f64 v[76:77], v[52:53], s[28:29], v[110:111]
	v_fma_f64 v[104:105], v[54:55], s[28:29], v[116:117]
	v_mul_f64 v[56:57], v[56:57], s[2:3]
	v_fma_f64 v[108:109], v[54:55], s[28:29], -v[116:117]
	v_fma_f64 v[118:119], v[54:55], s[20:21], -v[118:119]
	v_mul_f64 v[116:117], v[80:81], s[22:23]
	v_add_f64 v[110:111], v[68:69], v[78:79]
	v_mul_f64 v[68:69], v[66:67], s[30:31]
	v_add_f64 v[84:85], v[76:77], v[84:85]
	v_fma_f64 v[76:77], v[52:53], s[16:17], -v[62:63]
	v_mul_f64 v[78:79], v[80:81], s[30:31]
	v_add_f64 v[104:105], v[104:105], v[112:113]
	v_fma_f64 v[112:113], v[54:55], s[16:17], v[56:57]
	v_add_f64 v[96:97], v[108:109], v[96:97]
	v_fma_f64 v[52:53], v[52:53], s[16:17], v[62:63]
	v_fma_f64 v[54:55], v[54:55], s[16:17], -v[56:57]
	v_fma_f64 v[56:57], v[74:75], s[28:29], -v[68:69]
	v_add_f64 v[108:109], v[76:77], v[64:65]
	v_mul_f64 v[64:65], v[66:67], s[34:35]
	v_fma_f64 v[62:63], v[72:73], s[28:29], v[78:79]
	v_mul_f64 v[76:77], v[80:81], s[34:35]
	v_add_f64 v[82:83], v[112:113], v[82:83]
	v_add_f64 v[112:113], v[52:53], v[48:49]
	;; [unrolled: 1-line block ×4, first 2 shown]
	v_fma_f64 v[52:53], v[74:75], s[28:29], v[68:69]
	v_fma_f64 v[54:55], v[72:73], s[28:29], -v[78:79]
	v_fma_f64 v[56:57], v[74:75], s[20:21], -v[64:65]
	v_mul_f64 v[86:87], v[66:67], s[22:23]
	v_fma_f64 v[64:65], v[74:75], s[20:21], v[64:65]
	v_add_f64 v[50:51], v[62:63], v[70:71]
	v_fma_f64 v[62:63], v[72:73], s[20:21], v[76:77]
	v_fma_f64 v[70:71], v[72:73], s[20:21], -v[76:77]
	v_add_f64 v[76:77], v[52:53], v[58:59]
	v_add_f64 v[78:79], v[54:55], v[60:61]
	;; [unrolled: 1-line block ×3, first 2 shown]
	v_fma_f64 v[56:57], v[74:75], s[26:27], -v[86:87]
	v_add_f64 v[68:69], v[64:65], v[88:89]
	v_fma_f64 v[60:61], v[74:75], s[26:27], v[86:87]
	v_mul_f64 v[64:65], v[66:67], s[2:3]
	v_mul_f64 v[86:87], v[80:81], s[2:3]
	v_fma_f64 v[58:59], v[72:73], s[26:27], v[116:117]
	v_mul_f64 v[66:67], v[66:67], s[18:19]
	v_mul_f64 v[80:81], v[80:81], s[18:19]
	v_add_f64 v[100:101], v[118:119], v[100:101]
	v_add_f64 v[54:55], v[62:63], v[102:103]
	v_fma_f64 v[62:63], v[72:73], s[26:27], -v[116:117]
	v_add_f64 v[70:71], v[70:71], v[90:91]
	v_fma_f64 v[88:89], v[74:75], s[16:17], -v[64:65]
	v_fma_f64 v[90:91], v[72:73], s[16:17], v[86:87]
	v_add_f64 v[58:59], v[58:59], v[98:99]
	v_fma_f64 v[94:95], v[74:75], s[0:1], -v[66:67]
	v_fma_f64 v[98:99], v[72:73], s[0:1], v[80:81]
	v_add_f64 v[56:57], v[56:57], v[92:93]
	v_add_f64 v[62:63], v[62:63], v[100:101]
	v_fma_f64 v[92:93], v[74:75], s[16:17], v[64:65]
	v_fma_f64 v[86:87], v[72:73], s[16:17], -v[86:87]
	v_fma_f64 v[100:101], v[74:75], s[0:1], v[66:67]
	v_fma_f64 v[102:103], v[72:73], s[0:1], -v[80:81]
	v_add_f64 v[64:65], v[88:89], v[110:111]
	v_add_f64 v[66:67], v[90:91], v[104:105]
	;; [unrolled: 1-line block ×8, first 2 shown]
	v_mul_lo_u16_e32 v88, 11, v202
	v_lshlrev_b32_e32 v205, 4, v88
	v_add_f64 v[60:61], v[60:61], v[106:107]
	ds_write_b128 v205, v[44:47]
	ds_write_b128 v205, v[48:51] offset:16
	ds_write_b128 v205, v[52:55] offset:32
	;; [unrolled: 1-line block ×10, first 2 shown]
	s_waitcnt lgkmcnt(0)
	s_barrier
	ds_read_b128 v[80:83], v201
	ds_read_b128 v[84:87], v201 offset:2112
	ds_read_b128 v[96:99], v201 offset:15488
	;; [unrolled: 1-line block ×8, first 2 shown]
	s_movk_i32 s0, 0x58
	v_cmp_gt_u16_e64 s[0:1], s0, v202
                                        ; implicit-def: $vgpr120_vgpr121
	s_and_saveexec_b64 s[2:3], s[0:1]
	s_cbranch_execz .LBB0_3
; %bb.2:
	ds_read_b128 v[68:71], v201 offset:6336
	ds_read_b128 v[76:79], v201 offset:14080
	;; [unrolled: 1-line block ×3, first 2 shown]
.LBB0_3:
	s_or_b64 exec, exec, s[2:3]
	s_movk_i32 s2, 0x108
	v_add_co_u32_e32 v124, vcc, s2, v202
	s_movk_i32 s2, 0x75
	v_mul_lo_u16_sdwa v45, v202, s2 dst_sel:DWORD dst_unused:UNUSED_PAD src0_sel:BYTE_0 src1_sel:DWORD
	v_sub_u16_sdwa v46, v202, v45 dst_sel:DWORD dst_unused:UNUSED_PAD src0_sel:DWORD src1_sel:BYTE_1
	v_lshrrev_b16_e32 v46, 1, v46
	v_and_b32_e32 v46, 0x7f, v46
	v_add_co_u32_e32 v44, vcc, 0x84, v202
	v_add_u16_sdwa v45, v46, v45 dst_sel:DWORD dst_unused:UNUSED_PAD src0_sel:DWORD src1_sel:BYTE_1
	s_mov_b32 s2, 0xba2f
	v_lshrrev_b16_e32 v161, 3, v45
	v_mul_u32_u24_sdwa v45, v44, s2 dst_sel:DWORD dst_unused:UNUSED_PAD src0_sel:WORD_0 src1_sel:DWORD
	v_lshrrev_b32_e32 v162, 19, v45
	v_mul_lo_u16_e32 v45, 11, v162
	v_sub_u16_e32 v163, v44, v45
	v_lshlrev_b16_e32 v44, 1, v163
	v_lshlrev_b32_e32 v52, 4, v44
	global_load_dwordx4 v[44:47], v52, s[14:15] offset:16
	global_load_dwordx4 v[48:51], v52, s[14:15]
	v_mul_u32_u24_sdwa v52, v124, s2 dst_sel:DWORD dst_unused:UNUSED_PAD src0_sel:WORD_0 src1_sel:DWORD
	v_lshrrev_b32_e32 v164, 19, v52
	v_mul_lo_u16_e32 v52, 11, v164
	v_sub_u16_e32 v165, v124, v52
	v_add_u16_e32 v52, 0x18c, v202
	v_mul_u32_u24_e32 v53, 0xba2f, v52
	v_lshrrev_b32_e32 v203, 19, v53
	v_mul_lo_u16_e32 v53, 11, v203
	v_sub_u16_e32 v204, v52, v53
	v_mul_lo_u16_e32 v72, 11, v161
	v_lshlrev_b16_e32 v52, 1, v204
	v_lshlrev_b32_e32 v60, 4, v52
	v_sub_u16_e32 v72, v202, v72
	global_load_dwordx4 v[52:55], v60, s[14:15] offset:16
	global_load_dwordx4 v[56:59], v60, s[14:15]
	v_lshlrev_b16_e32 v60, 1, v165
	v_and_b32_e32 v166, 0xff, v72
	v_lshlrev_b32_e32 v64, 4, v60
	v_lshlrev_b32_e32 v72, 5, v166
	global_load_dwordx4 v[60:63], v64, s[14:15] offset:16
	s_nop 0
	global_load_dwordx4 v[64:67], v64, s[14:15]
	s_nop 0
	global_load_dwordx4 v[88:91], v72, s[14:15]
	s_nop 0
	global_load_dwordx4 v[72:75], v72, s[14:15] offset:16
	s_mov_b32 s2, 0xe8584caa
	s_mov_b32 s3, 0x3febb67a
	;; [unrolled: 1-line block ×4, first 2 shown]
	s_waitcnt vmcnt(0) lgkmcnt(0)
	s_barrier
	v_mul_f64 v[129:130], v[114:115], v[46:47]
	v_mul_f64 v[125:126], v[118:119], v[50:51]
	;; [unrolled: 1-line block ×4, first 2 shown]
	v_fma_f64 v[116:117], v[116:117], v[48:49], -v[125:126]
	v_fma_f64 v[118:119], v[118:119], v[48:49], v[127:128]
	v_fma_f64 v[125:126], v[112:113], v[44:45], -v[129:130]
	v_fma_f64 v[127:128], v[114:115], v[44:45], v[131:132]
	v_mul_f64 v[137:138], v[122:123], v[54:55]
	v_mul_f64 v[133:134], v[78:79], v[58:59]
	;; [unrolled: 1-line block ×4, first 2 shown]
	v_add_f64 v[129:130], v[84:85], v[116:117]
	v_mul_f64 v[145:146], v[106:107], v[62:63]
	v_mul_f64 v[149:150], v[102:103], v[90:91]
	;; [unrolled: 1-line block ×8, first 2 shown]
	v_fma_f64 v[112:113], v[76:77], v[56:57], -v[133:134]
	v_fma_f64 v[114:115], v[78:79], v[56:57], v[135:136]
	v_fma_f64 v[76:77], v[120:121], v[52:53], -v[137:138]
	v_fma_f64 v[78:79], v[122:123], v[52:53], v[139:140]
	;; [unrolled: 2-line block ×6, first 2 shown]
	v_add_f64 v[135:136], v[86:87], v[118:119]
	v_add_f64 v[131:132], v[116:117], v[125:126]
	;; [unrolled: 1-line block ×4, first 2 shown]
	v_add_f64 v[133:134], v[118:119], -v[127:128]
	v_add_f64 v[118:119], v[118:119], v[127:128]
	v_add_f64 v[137:138], v[112:113], v[76:77]
	;; [unrolled: 1-line block ×4, first 2 shown]
	v_add_f64 v[145:146], v[110:111], -v[106:107]
	v_add_f64 v[147:148], v[94:95], v[110:111]
	v_add_f64 v[110:111], v[110:111], v[106:107]
	;; [unrolled: 1-line block ×3, first 2 shown]
	v_add_f64 v[149:150], v[108:109], -v[104:105]
	v_add_f64 v[108:109], v[80:81], v[100:101]
	v_add_f64 v[155:156], v[82:83], v[102:103]
	v_add_f64 v[153:154], v[102:103], -v[122:123]
	v_add_f64 v[159:160], v[100:101], -v[120:121]
	v_add_f64 v[102:103], v[135:136], v[127:128]
	v_fma_f64 v[127:128], v[151:152], -0.5, v[80:81]
	v_fma_f64 v[135:136], v[157:158], -0.5, v[82:83]
	v_add_f64 v[116:117], v[116:117], -v[125:126]
	v_add_f64 v[100:101], v[129:130], v[125:126]
	v_fma_f64 v[125:126], v[131:132], -0.5, v[84:85]
	v_fma_f64 v[118:119], v[118:119], -0.5, v[86:87]
	v_add_f64 v[96:97], v[114:115], -v[78:79]
	v_add_f64 v[98:99], v[112:113], -v[76:77]
	v_fma_f64 v[84:85], v[137:138], -0.5, v[68:69]
	v_fma_f64 v[86:87], v[139:140], -0.5, v[70:71]
	;; [unrolled: 1-line block ×4, first 2 shown]
	v_add_f64 v[92:93], v[108:109], v[120:121]
	v_add_f64 v[94:95], v[155:156], v[122:123]
	v_fma_f64 v[120:121], v[153:154], s[2:3], v[127:128]
	v_fma_f64 v[122:123], v[159:160], s[16:17], v[135:136]
	;; [unrolled: 1-line block ×7, first 2 shown]
	v_add_f64 v[104:105], v[141:142], v[104:105]
	v_fma_f64 v[110:111], v[116:117], s[2:3], v[118:119]
	v_add_f64 v[106:107], v[147:148], v[106:107]
	v_fma_f64 v[152:153], v[96:97], s[16:17], v[84:85]
	v_fma_f64 v[154:155], v[98:99], s[2:3], v[86:87]
	;; [unrolled: 1-line block ×6, first 2 shown]
	v_mul_u32_u24_e32 v133, 33, v161
	v_add_lshl_u32 v206, v133, v166, 4
	ds_write_b128 v206, v[92:95]
	ds_write_b128 v206, v[120:123] offset:176
	ds_write_b128 v206, v[125:128] offset:352
	v_mad_legacy_u16 v92, v162, 33, v163
	v_lshlrev_b32_e32 v207, 4, v92
	ds_write_b128 v207, v[100:103]
	ds_write_b128 v207, v[80:83] offset:176
	ds_write_b128 v207, v[108:111] offset:352
	v_mad_legacy_u16 v80, v164, 33, v165
	v_lshlrev_b32_e32 v208, 4, v80
	ds_write_b128 v208, v[104:107]
	ds_write_b128 v208, v[116:119] offset:176
	ds_write_b128 v208, v[129:132] offset:352
	s_and_saveexec_b64 s[16:17], s[0:1]
	s_cbranch_execz .LBB0_5
; %bb.4:
	v_add_f64 v[82:83], v[70:71], v[114:115]
	v_add_f64 v[68:69], v[68:69], v[112:113]
	v_mul_f64 v[80:81], v[98:99], s[2:3]
	v_mul_f64 v[92:93], v[96:97], s[2:3]
	v_add_f64 v[78:79], v[82:83], v[78:79]
	v_add_f64 v[76:77], v[68:69], v[76:77]
	v_add_f64 v[70:71], v[86:87], -v[80:81]
	v_add_f64 v[68:69], v[92:93], v[84:85]
	v_mad_legacy_u16 v80, v203, 33, v204
	v_lshlrev_b32_e32 v80, 4, v80
	ds_write_b128 v80, v[76:79]
	ds_write_b128 v80, v[68:71] offset:176
	ds_write_b128 v80, v[152:155] offset:352
.LBB0_5:
	s_or_b64 exec, exec, s[16:17]
	s_movk_i32 s2, 0xf9
	v_mul_lo_u16_sdwa v68, v202, s2 dst_sel:DWORD dst_unused:UNUSED_PAD src0_sel:BYTE_0 src1_sel:DWORD
	v_lshrrev_b16_e32 v116, 13, v68
	v_mul_lo_u16_e32 v68, 33, v116
	v_sub_u16_e32 v68, v202, v68
	v_and_b32_e32 v117, 0xff, v68
	v_mov_b32_e32 v69, s15
	s_movk_i32 s2, 0xa0
	v_mov_b32_e32 v68, s14
	v_mad_u64_u32 v[100:101], s[2:3], v117, s2, v[68:69]
	s_waitcnt lgkmcnt(0)
	s_barrier
	global_load_dwordx4 v[112:115], v[100:101], off offset:352
	global_load_dwordx4 v[104:107], v[100:101], off offset:368
	global_load_dwordx4 v[84:87], v[100:101], off offset:384
	global_load_dwordx4 v[76:79], v[100:101], off offset:400
	global_load_dwordx4 v[108:111], v[100:101], off offset:416
	global_load_dwordx4 v[92:95], v[100:101], off offset:432
	global_load_dwordx4 v[80:83], v[100:101], off offset:448
	global_load_dwordx4 v[68:71], v[100:101], off offset:464
	global_load_dwordx4 v[96:99], v[100:101], off offset:480
	s_nop 0
	global_load_dwordx4 v[100:103], v[100:101], off offset:496
	ds_read_b128 v[118:121], v201
	ds_read_b128 v[125:128], v201 offset:2112
	ds_read_b128 v[129:132], v201 offset:4224
	;; [unrolled: 1-line block ×10, first 2 shown]
	s_mov_b32 s30, 0xf8bb580b
	s_mov_b32 s26, 0xbb3a28a1
	;; [unrolled: 1-line block ×22, first 2 shown]
	v_mul_u32_u24_e32 v116, 0x16b, v116
	v_add_lshl_u32 v209, v116, v117, 4
	s_waitcnt vmcnt(0) lgkmcnt(0)
	s_barrier
	v_mul_f64 v[122:123], v[127:128], v[114:115]
	v_mul_f64 v[149:150], v[125:126], v[114:115]
	;; [unrolled: 1-line block ×18, first 2 shown]
	v_fma_f64 v[122:123], v[125:126], v[112:113], -v[122:123]
	v_fma_f64 v[125:126], v[127:128], v[112:113], v[149:150]
	v_fma_f64 v[127:128], v[129:130], v[104:105], -v[172:173]
	v_fma_f64 v[129:130], v[131:132], v[104:105], v[174:175]
	;; [unrolled: 2-line block ×9, first 2 shown]
	v_add_f64 v[168:169], v[118:119], v[122:123]
	v_add_f64 v[170:171], v[120:121], v[125:126]
	v_mul_f64 v[196:197], v[162:163], v[70:71]
	v_mul_f64 v[198:199], v[160:161], v[70:71]
	v_add_f64 v[172:173], v[122:123], v[156:157]
	v_add_f64 v[174:175], v[125:126], v[158:159]
	;; [unrolled: 1-line block ×4, first 2 shown]
	v_add_f64 v[180:181], v[127:128], -v[164:165]
	v_add_f64 v[182:183], v[129:130], -v[166:167]
	v_add_f64 v[127:128], v[168:169], v[127:128]
	v_add_f64 v[129:130], v[170:171], v[129:130]
	v_add_f64 v[125:126], v[125:126], -v[158:159]
	v_add_f64 v[122:123], v[122:123], -v[156:157]
	v_fma_f64 v[160:161], v[160:161], v[68:69], -v[196:197]
	v_fma_f64 v[162:163], v[162:163], v[68:69], v[198:199]
	v_mul_f64 v[198:199], v[180:181], s[20:21]
	v_mul_f64 v[196:197], v[182:183], s[20:21]
	v_add_f64 v[127:128], v[127:128], v[131:132]
	v_add_f64 v[129:130], v[129:130], v[133:134]
	v_mul_f64 v[168:169], v[125:126], s[30:31]
	v_mul_f64 v[184:185], v[125:126], s[20:21]
	;; [unrolled: 1-line block ×6, first 2 shown]
	v_add_f64 v[127:128], v[127:128], v[135:136]
	v_add_f64 v[129:130], v[129:130], v[137:138]
	v_fma_f64 v[215:216], v[172:173], s[22:23], -v[168:169]
	v_fma_f64 v[168:169], v[172:173], s[22:23], v[168:169]
	v_fma_f64 v[219:220], v[172:173], s[2:3], -v[184:185]
	v_fma_f64 v[184:185], v[172:173], s[2:3], v[184:185]
	;; [unrolled: 2-line block ×3, first 2 shown]
	v_add_f64 v[127:128], v[127:128], v[139:140]
	v_add_f64 v[129:130], v[129:130], v[141:142]
	v_fma_f64 v[227:228], v[172:173], s[24:25], -v[192:193]
	v_fma_f64 v[192:193], v[172:173], s[24:25], v[192:193]
	v_fma_f64 v[231:232], v[172:173], s[28:29], -v[125:126]
	v_fma_f64 v[172:173], v[172:173], s[28:29], v[125:126]
	v_mul_f64 v[186:187], v[122:123], s[20:21]
	v_mul_f64 v[190:191], v[122:123], s[18:19]
	v_add_f64 v[125:126], v[127:128], v[143:144]
	v_add_f64 v[127:128], v[129:130], v[145:146]
	v_mul_f64 v[194:195], v[122:123], s[26:27]
	v_mul_f64 v[122:123], v[122:123], s[34:35]
	v_fma_f64 v[217:218], v[174:175], s[22:23], v[170:171]
	v_mul_f64 v[211:212], v[182:183], s[26:27]
	v_fma_f64 v[170:171], v[174:175], s[22:23], -v[170:171]
	v_fma_f64 v[221:222], v[174:175], s[2:3], v[186:187]
	v_add_f64 v[125:126], v[125:126], v[147:148]
	v_add_f64 v[127:128], v[127:128], v[149:150]
	v_fma_f64 v[186:187], v[174:175], s[2:3], -v[186:187]
	v_fma_f64 v[225:226], v[174:175], s[16:17], v[190:191]
	v_fma_f64 v[190:191], v[174:175], s[16:17], -v[190:191]
	v_fma_f64 v[229:230], v[174:175], s[24:25], v[194:195]
	v_fma_f64 v[194:195], v[174:175], s[24:25], -v[194:195]
	v_fma_f64 v[233:234], v[174:175], s[28:29], v[122:123]
	v_fma_f64 v[122:123], v[174:175], s[28:29], -v[122:123]
	v_fma_f64 v[129:130], v[176:177], s[2:3], -v[196:197]
	v_fma_f64 v[174:175], v[178:179], s[2:3], v[198:199]
	v_add_f64 v[215:216], v[118:119], v[215:216]
	v_add_f64 v[217:218], v[120:121], v[217:218]
	;; [unrolled: 1-line block ×4, first 2 shown]
	v_mul_f64 v[213:214], v[180:181], s[26:27]
	v_fma_f64 v[196:197], v[176:177], s[2:3], v[196:197]
	v_fma_f64 v[198:199], v[178:179], s[2:3], -v[198:199]
	v_fma_f64 v[235:236], v[176:177], s[24:25], -v[211:212]
	v_add_f64 v[168:169], v[118:119], v[168:169]
	v_add_f64 v[170:171], v[120:121], v[170:171]
	;; [unrolled: 1-line block ×22, first 2 shown]
	v_mul_f64 v[172:173], v[182:183], s[40:41]
	v_mul_f64 v[174:175], v[180:181], s[40:41]
	v_add_f64 v[125:126], v[125:126], v[156:157]
	v_add_f64 v[127:128], v[127:128], v[158:159]
	;; [unrolled: 1-line block ×5, first 2 shown]
	v_fma_f64 v[170:171], v[178:179], s[24:25], v[213:214]
	v_mul_f64 v[196:197], v[182:183], s[38:39]
	v_fma_f64 v[198:199], v[176:177], s[24:25], v[211:212]
	v_fma_f64 v[211:212], v[178:179], s[24:25], -v[213:214]
	v_fma_f64 v[213:214], v[176:177], s[28:29], -v[172:173]
	v_fma_f64 v[215:216], v[178:179], s[28:29], v[174:175]
	v_fma_f64 v[172:173], v[176:177], s[28:29], v[172:173]
	v_fma_f64 v[174:175], v[178:179], s[28:29], -v[174:175]
	v_mul_f64 v[219:220], v[180:181], s[38:39]
	v_mul_f64 v[182:183], v[182:183], s[36:37]
	;; [unrolled: 1-line block ×3, first 2 shown]
	v_fma_f64 v[217:218], v[176:177], s[16:17], -v[196:197]
	v_add_f64 v[184:185], v[198:199], v[184:185]
	v_add_f64 v[186:187], v[211:212], v[186:187]
	;; [unrolled: 1-line block ×4, first 2 shown]
	v_fma_f64 v[188:189], v[178:179], s[16:17], v[219:220]
	v_fma_f64 v[190:191], v[176:177], s[16:17], v[196:197]
	v_add_f64 v[198:199], v[213:214], v[223:224]
	v_add_f64 v[211:212], v[215:216], v[225:226]
	v_add_f64 v[196:197], v[133:134], -v[162:163]
	v_fma_f64 v[213:214], v[178:179], s[16:17], -v[219:220]
	v_fma_f64 v[215:216], v[178:179], s[22:23], v[180:181]
	v_add_f64 v[133:134], v[133:134], v[162:163]
	v_add_f64 v[166:167], v[188:189], v[166:167]
	v_add_f64 v[188:189], v[131:132], -v[160:161]
	v_add_f64 v[190:191], v[190:191], v[192:193]
	v_fma_f64 v[192:193], v[176:177], s[22:23], -v[182:183]
	v_add_f64 v[131:132], v[131:132], v[160:161]
	v_mul_f64 v[160:161], v[196:197], s[18:19]
	v_add_f64 v[194:195], v[213:214], v[194:195]
	v_fma_f64 v[176:177], v[176:177], s[22:23], v[182:183]
	v_fma_f64 v[178:179], v[178:179], s[22:23], -v[180:181]
	v_mul_f64 v[162:163], v[188:189], s[18:19]
	v_mul_f64 v[213:214], v[196:197], s[40:41]
	v_add_f64 v[182:183], v[192:193], v[227:228]
	v_add_f64 v[192:193], v[215:216], v[229:230]
	v_mul_f64 v[215:216], v[188:189], s[40:41]
	v_add_f64 v[170:171], v[170:171], v[221:222]
	v_add_f64 v[164:165], v[217:218], v[164:165]
	v_fma_f64 v[180:181], v[131:132], s[16:17], -v[160:161]
	v_fma_f64 v[217:218], v[133:134], s[16:17], v[162:163]
	v_add_f64 v[118:119], v[176:177], v[118:119]
	v_add_f64 v[120:121], v[178:179], v[120:121]
	v_fma_f64 v[160:161], v[131:132], s[16:17], v[160:161]
	v_fma_f64 v[162:163], v[133:134], s[16:17], -v[162:163]
	v_fma_f64 v[176:177], v[131:132], s[28:29], -v[213:214]
	v_fma_f64 v[178:179], v[133:134], s[28:29], v[215:216]
	s_mov_b32 s21, 0x3fed1bb4
	v_add_f64 v[122:123], v[180:181], v[122:123]
	v_mul_f64 v[180:181], v[196:197], s[20:21]
	v_add_f64 v[129:130], v[217:218], v[129:130]
	v_add_f64 v[156:157], v[160:161], v[156:157]
	;; [unrolled: 1-line block ×5, first 2 shown]
	v_fma_f64 v[168:169], v[131:132], s[28:29], v[213:214]
	v_fma_f64 v[170:171], v[133:134], s[28:29], -v[215:216]
	v_mul_f64 v[213:214], v[196:197], s[30:31]
	v_mul_f64 v[215:216], v[188:189], s[30:31]
	;; [unrolled: 1-line block ×3, first 2 shown]
	v_fma_f64 v[176:177], v[131:132], s[2:3], -v[180:181]
	v_fma_f64 v[180:181], v[131:132], s[2:3], v[180:181]
	v_mul_f64 v[188:189], v[188:189], s[26:27]
	v_add_f64 v[168:169], v[168:169], v[184:185]
	v_add_f64 v[170:171], v[170:171], v[186:187]
	v_fma_f64 v[184:185], v[131:132], s[22:23], -v[213:214]
	v_fma_f64 v[186:187], v[133:134], s[22:23], v[215:216]
	v_fma_f64 v[178:179], v[133:134], s[2:3], v[217:218]
	v_fma_f64 v[217:218], v[133:134], s[2:3], -v[217:218]
	v_add_f64 v[172:173], v[180:181], v[172:173]
	v_mul_f64 v[180:181], v[196:197], s[26:27]
	v_add_f64 v[176:177], v[176:177], v[198:199]
	v_fma_f64 v[196:197], v[131:132], s[22:23], v[213:214]
	v_add_f64 v[164:165], v[184:185], v[164:165]
	v_add_f64 v[166:167], v[186:187], v[166:167]
	v_add_f64 v[184:185], v[137:138], -v[149:150]
	v_add_f64 v[186:187], v[135:136], -v[147:148]
	v_add_f64 v[178:179], v[178:179], v[211:212]
	v_fma_f64 v[198:199], v[133:134], s[22:23], -v[215:216]
	v_fma_f64 v[211:212], v[131:132], s[24:25], -v[180:181]
	v_fma_f64 v[213:214], v[133:134], s[24:25], v[188:189]
	v_add_f64 v[135:136], v[135:136], v[147:148]
	v_add_f64 v[137:138], v[137:138], v[149:150]
	v_mul_f64 v[147:148], v[184:185], s[26:27]
	v_mul_f64 v[149:150], v[186:187], s[26:27]
	v_fma_f64 v[131:132], v[131:132], s[24:25], v[180:181]
	v_fma_f64 v[133:134], v[133:134], s[24:25], -v[188:189]
	v_mul_f64 v[180:181], v[184:185], s[38:39]
	v_mul_f64 v[188:189], v[186:187], s[38:39]
	v_add_f64 v[190:191], v[196:197], v[190:191]
	v_add_f64 v[194:195], v[198:199], v[194:195]
	v_fma_f64 v[196:197], v[135:136], s[24:25], -v[147:148]
	v_fma_f64 v[198:199], v[137:138], s[24:25], v[149:150]
	v_fma_f64 v[147:148], v[135:136], s[24:25], v[147:148]
	v_fma_f64 v[149:150], v[137:138], s[24:25], -v[149:150]
	v_add_f64 v[118:119], v[131:132], v[118:119]
	v_add_f64 v[120:121], v[133:134], v[120:121]
	v_fma_f64 v[131:132], v[135:136], s[16:17], -v[180:181]
	v_fma_f64 v[133:134], v[137:138], s[16:17], v[188:189]
	v_fma_f64 v[180:181], v[135:136], s[16:17], v[180:181]
	v_fma_f64 v[188:189], v[137:138], s[16:17], -v[188:189]
	v_add_f64 v[147:148], v[147:148], v[156:157]
	v_add_f64 v[149:150], v[149:150], v[158:159]
	v_mul_f64 v[156:157], v[184:185], s[30:31]
	v_mul_f64 v[158:159], v[186:187], s[30:31]
	v_add_f64 v[131:132], v[131:132], v[160:161]
	v_add_f64 v[133:134], v[133:134], v[162:163]
	v_mul_f64 v[160:161], v[184:185], s[34:35]
	v_mul_f64 v[162:163], v[186:187], s[34:35]
	v_add_f64 v[174:175], v[217:218], v[174:175]
	v_add_f64 v[182:183], v[211:212], v[182:183]
	;; [unrolled: 1-line block ×5, first 2 shown]
	v_fma_f64 v[196:197], v[135:136], s[22:23], -v[156:157]
	v_fma_f64 v[198:199], v[137:138], s[22:23], v[158:159]
	v_fma_f64 v[156:157], v[135:136], s[22:23], v[156:157]
	v_fma_f64 v[158:159], v[137:138], s[22:23], -v[158:159]
	v_fma_f64 v[211:212], v[135:136], s[28:29], -v[160:161]
	v_fma_f64 v[213:214], v[137:138], s[28:29], v[162:163]
	v_add_f64 v[168:169], v[180:181], v[168:169]
	v_add_f64 v[180:181], v[141:142], -v[145:146]
	v_add_f64 v[170:171], v[188:189], v[170:171]
	v_add_f64 v[188:189], v[139:140], -v[143:144]
	v_add_f64 v[156:157], v[156:157], v[172:173]
	v_add_f64 v[158:159], v[158:159], v[174:175]
	;; [unrolled: 1-line block ×4, first 2 shown]
	v_mul_f64 v[164:165], v[184:185], s[20:21]
	v_mul_f64 v[166:167], v[186:187], s[20:21]
	v_fma_f64 v[160:161], v[135:136], s[28:29], v[160:161]
	v_add_f64 v[139:140], v[139:140], v[143:144]
	v_mul_f64 v[143:144], v[180:181], s[34:35]
	v_fma_f64 v[162:163], v[137:138], s[28:29], -v[162:163]
	v_add_f64 v[141:142], v[141:142], v[145:146]
	v_mul_f64 v[145:146], v[188:189], s[34:35]
	v_fma_f64 v[184:185], v[135:136], s[2:3], -v[164:165]
	v_fma_f64 v[186:187], v[137:138], s[2:3], v[166:167]
	v_add_f64 v[190:191], v[160:161], v[190:191]
	v_fma_f64 v[135:136], v[135:136], s[2:3], v[164:165]
	v_fma_f64 v[160:161], v[139:140], s[28:29], -v[143:144]
	v_add_f64 v[194:195], v[162:163], v[194:195]
	v_fma_f64 v[137:138], v[137:138], s[2:3], -v[166:167]
	v_fma_f64 v[162:163], v[141:142], s[28:29], v[145:146]
	v_mul_f64 v[164:165], v[180:181], s[36:37]
	v_mul_f64 v[166:167], v[188:189], s[36:37]
	v_add_f64 v[182:183], v[184:185], v[182:183]
	v_add_f64 v[184:185], v[186:187], v[192:193]
	;; [unrolled: 1-line block ×4, first 2 shown]
	v_fma_f64 v[122:123], v[139:140], s[28:29], v[143:144]
	v_mul_f64 v[143:144], v[180:181], s[26:27]
	v_add_f64 v[192:193], v[137:138], v[120:121]
	v_add_f64 v[120:121], v[162:163], v[129:130]
	v_fma_f64 v[129:130], v[141:142], s[28:29], -v[145:146]
	v_fma_f64 v[135:136], v[139:140], s[22:23], -v[164:165]
	v_fma_f64 v[137:138], v[141:142], s[22:23], v[166:167]
	v_mul_f64 v[145:146], v[188:189], s[26:27]
	v_add_f64 v[176:177], v[196:197], v[176:177]
	v_fma_f64 v[160:161], v[139:140], s[22:23], v[164:165]
	v_add_f64 v[164:165], v[122:123], v[147:148]
	v_fma_f64 v[122:123], v[139:140], s[24:25], -v[143:144]
	v_fma_f64 v[162:163], v[141:142], s[22:23], -v[166:167]
	v_add_f64 v[166:167], v[129:130], v[149:150]
	v_add_f64 v[129:130], v[135:136], v[131:132]
	;; [unrolled: 1-line block ×3, first 2 shown]
	v_fma_f64 v[135:136], v[141:142], s[24:25], v[145:146]
	v_fma_f64 v[137:138], v[139:140], s[24:25], v[143:144]
	v_fma_f64 v[143:144], v[141:142], s[24:25], -v[145:146]
	v_mul_f64 v[145:146], v[180:181], s[20:21]
	v_mul_f64 v[147:148], v[188:189], s[20:21]
	v_add_f64 v[133:134], v[122:123], v[176:177]
	v_mul_f64 v[122:123], v[180:181], s[18:19]
	v_mul_f64 v[149:150], v[188:189], s[18:19]
	v_add_f64 v[178:179], v[198:199], v[178:179]
	v_add_f64 v[156:157], v[137:138], v[156:157]
	;; [unrolled: 1-line block ×3, first 2 shown]
	v_fma_f64 v[137:138], v[139:140], s[2:3], -v[145:146]
	v_fma_f64 v[143:144], v[141:142], s[2:3], v[147:148]
	v_add_f64 v[160:161], v[160:161], v[168:169]
	v_add_f64 v[162:163], v[162:163], v[170:171]
	v_fma_f64 v[145:146], v[139:140], s[2:3], v[145:146]
	v_fma_f64 v[147:148], v[141:142], s[2:3], -v[147:148]
	v_fma_f64 v[168:169], v[139:140], s[16:17], -v[122:123]
	v_fma_f64 v[170:171], v[141:142], s[16:17], v[149:150]
	v_fma_f64 v[122:123], v[139:140], s[16:17], v[122:123]
	v_fma_f64 v[149:150], v[141:142], s[16:17], -v[149:150]
	v_add_f64 v[135:136], v[135:136], v[178:179]
	v_add_f64 v[137:138], v[137:138], v[172:173]
	;; [unrolled: 1-line block ×9, first 2 shown]
	ds_write_b128 v209, v[125:128]
	ds_write_b128 v209, v[118:121] offset:528
	ds_write_b128 v209, v[129:132] offset:1056
	ds_write_b128 v209, v[133:136] offset:1584
	ds_write_b128 v209, v[137:140] offset:2112
	ds_write_b128 v209, v[145:148] offset:2640
	ds_write_b128 v209, v[168:171] offset:3168
	ds_write_b128 v209, v[141:144] offset:3696
	ds_write_b128 v209, v[156:159] offset:4224
	ds_write_b128 v209, v[160:163] offset:4752
	ds_write_b128 v209, v[164:167] offset:5280
	s_waitcnt lgkmcnt(0)
	s_barrier
	ds_read_b128 v[172:175], v201
	ds_read_b128 v[168:171], v201 offset:2112
	ds_read_b128 v[188:191], v201 offset:5808
	;; [unrolled: 1-line block ×7, first 2 shown]
	s_movk_i32 s2, 0x63
	v_cmp_gt_u16_e64 s[2:3], s2, v202
	s_and_saveexec_b64 s[16:17], s[2:3]
	s_cbranch_execz .LBB0_7
; %bb.6:
	ds_read_b128 v[156:159], v201 offset:4224
	ds_read_b128 v[160:163], v201 offset:10032
	;; [unrolled: 1-line block ×4, first 2 shown]
.LBB0_7:
	s_or_b64 exec, exec, s[16:17]
	v_mad_u64_u32 v[116:117], s[16:17], v202, 48, s[14:15]
	s_movk_i32 s12, 0x1600
	s_movk_i32 s16, 0x1000
	v_add_co_u32_e32 v118, vcc, s12, v116
	v_addc_co_u32_e32 v119, vcc, 0, v117, vcc
	v_add_co_u32_e32 v120, vcc, s16, v116
	v_addc_co_u32_e32 v121, vcc, 0, v117, vcc
	s_movk_i32 s17, 0x2ec0
	global_load_dwordx4 v[128:131], v[118:119], off offset:32
	global_load_dwordx4 v[132:135], v[118:119], off offset:16
	v_add_co_u32_e32 v118, vcc, s17, v116
	v_addc_co_u32_e32 v119, vcc, 0, v117, vcc
	s_movk_i32 s17, 0x2000
	v_add_co_u32_e32 v116, vcc, s17, v116
	v_addc_co_u32_e32 v117, vcc, 0, v117, vcc
	global_load_dwordx4 v[136:139], v[116:117], off offset:3776
	global_load_dwordx4 v[140:143], v[118:119], off offset:32
	;; [unrolled: 1-line block ×4, first 2 shown]
	v_add_u32_e32 v116, 0xffffff9d, v202
	v_cndmask_b32_e64 v116, v116, v124, s[2:3]
	v_mul_hi_i32_i24_e32 v117, 48, v116
	v_mul_i32_i24_e32 v116, 48, v116
	v_mov_b32_e32 v118, s15
	v_add_co_u32_e32 v120, vcc, s14, v116
	v_addc_co_u32_e32 v121, vcc, v118, v117, vcc
	v_add_co_u32_e32 v116, vcc, s16, v120
	v_addc_co_u32_e32 v117, vcc, 0, v121, vcc
	;; [unrolled: 2-line block ×3, first 2 shown]
	global_load_dwordx4 v[116:119], v[116:117], off offset:1536
	s_nop 0
	global_load_dwordx4 v[124:127], v[120:121], off offset:16
	s_nop 0
	global_load_dwordx4 v[120:123], v[120:121], off offset:32
	s_waitcnt vmcnt(8) lgkmcnt(1)
	v_mul_f64 v[219:220], v[198:199], v[130:131]
	s_waitcnt vmcnt(7)
	v_mul_f64 v[215:216], v[194:195], v[134:135]
	v_mul_f64 v[217:218], v[192:193], v[134:135]
	v_mul_f64 v[221:222], v[196:197], v[130:131]
	s_waitcnt vmcnt(6)
	v_mul_f64 v[223:224], v[178:179], v[138:139]
	v_mul_f64 v[225:226], v[176:177], v[138:139]
	s_waitcnt vmcnt(4)
	v_mul_f64 v[211:212], v[190:191], v[150:151]
	v_mul_f64 v[213:214], v[188:189], v[150:151]
	s_waitcnt vmcnt(3)
	v_mul_f64 v[227:228], v[182:183], v[146:147]
	v_mul_f64 v[229:230], v[180:181], v[146:147]
	s_waitcnt lgkmcnt(0)
	v_mul_f64 v[231:232], v[186:187], v[142:143]
	v_mul_f64 v[233:234], v[184:185], v[142:143]
	v_fma_f64 v[192:193], v[192:193], v[132:133], -v[215:216]
	v_fma_f64 v[196:197], v[196:197], v[128:129], -v[219:220]
	v_fma_f64 v[188:189], v[188:189], v[148:149], -v[211:212]
	v_fma_f64 v[190:191], v[190:191], v[148:149], v[213:214]
	v_fma_f64 v[194:195], v[194:195], v[132:133], v[217:218]
	;; [unrolled: 1-line block ×3, first 2 shown]
	v_fma_f64 v[211:212], v[176:177], v[136:137], -v[223:224]
	v_fma_f64 v[213:214], v[178:179], v[136:137], v[225:226]
	v_fma_f64 v[176:177], v[180:181], v[144:145], -v[227:228]
	v_fma_f64 v[178:179], v[182:183], v[144:145], v[229:230]
	;; [unrolled: 2-line block ×3, first 2 shown]
	v_add_f64 v[192:193], v[172:173], -v[192:193]
	s_waitcnt vmcnt(2)
	v_mul_f64 v[237:238], v[160:161], v[118:119]
	s_waitcnt vmcnt(0)
	v_mul_f64 v[245:246], v[152:153], v[122:123]
	v_mul_f64 v[235:236], v[162:163], v[118:119]
	v_mul_f64 v[239:240], v[166:167], v[126:127]
	v_mul_f64 v[241:242], v[164:165], v[126:127]
	v_mul_f64 v[243:244], v[154:155], v[122:123]
	v_add_f64 v[184:185], v[188:189], -v[196:197]
	v_add_f64 v[194:195], v[174:175], -v[194:195]
	v_fma_f64 v[162:163], v[162:163], v[116:117], v[237:238]
	v_fma_f64 v[154:155], v[154:155], v[120:121], v[245:246]
	v_add_f64 v[186:187], v[190:191], -v[198:199]
	v_add_f64 v[196:197], v[168:169], -v[176:177]
	;; [unrolled: 1-line block ×5, first 2 shown]
	v_fma_f64 v[160:161], v[160:161], v[116:117], -v[235:236]
	v_fma_f64 v[164:165], v[164:165], v[124:125], -v[239:240]
	v_fma_f64 v[166:167], v[166:167], v[124:125], v[241:242]
	v_fma_f64 v[152:153], v[152:153], v[120:121], -v[243:244]
	v_add_f64 v[178:179], v[162:163], -v[154:155]
	v_fma_f64 v[154:155], v[172:173], 2.0, -v[192:193]
	v_fma_f64 v[188:189], v[188:189], 2.0, -v[184:185]
	;; [unrolled: 1-line block ×4, first 2 shown]
	v_add_f64 v[172:173], v[192:193], -v[186:187]
	v_fma_f64 v[217:218], v[168:169], 2.0, -v[196:197]
	v_fma_f64 v[219:220], v[170:171], 2.0, -v[198:199]
	v_fma_f64 v[186:187], v[211:212], 2.0, -v[180:181]
	v_fma_f64 v[211:212], v[213:214], 2.0, -v[182:183]
	v_add_f64 v[164:165], v[156:157], -v[164:165]
	v_add_f64 v[166:167], v[158:159], -v[166:167]
	;; [unrolled: 1-line block ×4, first 2 shown]
	v_add_f64 v[170:171], v[198:199], v[180:181]
	v_add_f64 v[180:181], v[154:155], -v[188:189]
	v_add_f64 v[174:175], v[194:195], v[184:185]
	v_add_f64 v[182:183], v[215:216], -v[190:191]
	v_add_f64 v[184:185], v[217:218], -v[186:187]
	;; [unrolled: 1-line block ×4, first 2 shown]
	v_fma_f64 v[188:189], v[192:193], 2.0, -v[172:173]
	v_fma_f64 v[192:193], v[196:197], 2.0, -v[168:169]
	;; [unrolled: 1-line block ×3, first 2 shown]
	v_add_f64 v[154:155], v[166:167], v[176:177]
	v_fma_f64 v[190:191], v[194:195], 2.0, -v[174:175]
	v_fma_f64 v[194:195], v[198:199], 2.0, -v[170:171]
	;; [unrolled: 1-line block ×5, first 2 shown]
	ds_write_b128 v201, v[172:175] offset:17424
	ds_write_b128 v201, v[188:191] offset:5808
	;; [unrolled: 1-line block ×5, first 2 shown]
	ds_write_b128 v201, v[196:199]
	ds_write_b128 v201, v[211:214] offset:2112
	ds_write_b128 v201, v[168:171] offset:19536
	s_and_saveexec_b64 s[14:15], s[2:3]
	s_cbranch_execz .LBB0_9
; %bb.8:
	v_fma_f64 v[168:169], v[158:159], 2.0, -v[166:167]
	v_fma_f64 v[158:159], v[162:163], 2.0, -v[178:179]
	;; [unrolled: 1-line block ×6, first 2 shown]
	v_add_f64 v[158:159], v[168:169], -v[158:159]
	v_add_f64 v[156:157], v[170:171], -v[156:157]
	v_fma_f64 v[166:167], v[168:169], 2.0, -v[158:159]
	v_fma_f64 v[164:165], v[170:171], 2.0, -v[156:157]
	ds_write_b128 v201, v[160:163] offset:10032
	ds_write_b128 v201, v[156:159] offset:15840
	;; [unrolled: 1-line block ×4, first 2 shown]
.LBB0_9:
	s_or_b64 exec, exec, s[14:15]
	v_mov_b32_e32 v156, s13
	v_addc_co_u32_e64 v156, vcc, 0, v156, s[6:7]
	s_movk_i32 s6, 0x5ac0
	v_add_co_u32_e32 v169, vcc, s6, v210
	v_addc_co_u32_e32 v170, vcc, 0, v156, vcc
	s_movk_i32 s6, 0x5000
	v_add_co_u32_e32 v161, vcc, s6, v210
	v_addc_co_u32_e32 v162, vcc, 0, v156, vcc
	s_waitcnt lgkmcnt(0)
	s_barrier
	global_load_dwordx4 v[161:164], v[161:162], off offset:2752
	ds_read_b128 v[157:160], v201
	s_movk_i32 s6, 0x6000
	s_mov_b32 s12, 0xf8bb580b
	s_mov_b32 s16, 0x43842ef
	;; [unrolled: 1-line block ×26, first 2 shown]
	s_waitcnt vmcnt(0) lgkmcnt(0)
	v_mul_f64 v[165:166], v[159:160], v[163:164]
	v_fma_f64 v[165:166], v[157:158], v[161:162], -v[165:166]
	v_mul_f64 v[157:158], v[157:158], v[163:164]
	v_fma_f64 v[167:168], v[159:160], v[161:162], v[157:158]
	global_load_dwordx4 v[161:164], v[169:170], off offset:2112
	ds_read_b128 v[157:160], v201 offset:2112
	ds_write_b128 v201, v[165:168]
	s_waitcnt vmcnt(0) lgkmcnt(1)
	v_mul_f64 v[165:166], v[159:160], v[163:164]
	v_fma_f64 v[165:166], v[157:158], v[161:162], -v[165:166]
	v_mul_f64 v[157:158], v[157:158], v[163:164]
	v_fma_f64 v[167:168], v[159:160], v[161:162], v[157:158]
	v_add_co_u32_e32 v161, vcc, s6, v210
	v_addc_co_u32_e32 v162, vcc, 0, v156, vcc
	global_load_dwordx4 v[161:164], v[161:162], off offset:2880
	ds_read_b128 v[157:160], v201 offset:4224
	s_movk_i32 s6, 0x7000
	ds_write_b128 v201, v[165:168] offset:2112
	v_add_co_u32_e32 v169, vcc, s6, v210
	v_addc_co_u32_e32 v170, vcc, 0, v156, vcc
	s_mov_b32 s6, 0x8000
	s_waitcnt vmcnt(0) lgkmcnt(1)
	v_mul_f64 v[165:166], v[159:160], v[163:164]
	v_fma_f64 v[165:166], v[157:158], v[161:162], -v[165:166]
	v_mul_f64 v[157:158], v[157:158], v[163:164]
	v_fma_f64 v[167:168], v[159:160], v[161:162], v[157:158]
	global_load_dwordx4 v[161:164], v[169:170], off offset:896
	ds_read_b128 v[157:160], v201 offset:6336
	ds_write_b128 v201, v[165:168] offset:4224
	s_waitcnt vmcnt(0) lgkmcnt(1)
	v_mul_f64 v[165:166], v[159:160], v[163:164]
	v_fma_f64 v[165:166], v[157:158], v[161:162], -v[165:166]
	v_mul_f64 v[157:158], v[157:158], v[163:164]
	v_fma_f64 v[167:168], v[159:160], v[161:162], v[157:158]
	global_load_dwordx4 v[161:164], v[169:170], off offset:3008
	ds_read_b128 v[157:160], v201 offset:8448
	v_add_co_u32_e32 v169, vcc, s6, v210
	v_addc_co_u32_e32 v170, vcc, 0, v156, vcc
	s_mov_b32 s6, 0x9000
	ds_write_b128 v201, v[165:168] offset:6336
	s_waitcnt vmcnt(0) lgkmcnt(1)
	v_mul_f64 v[165:166], v[159:160], v[163:164]
	v_fma_f64 v[165:166], v[157:158], v[161:162], -v[165:166]
	v_mul_f64 v[157:158], v[157:158], v[163:164]
	v_fma_f64 v[167:168], v[159:160], v[161:162], v[157:158]
	global_load_dwordx4 v[161:164], v[169:170], off offset:1024
	ds_read_b128 v[157:160], v201 offset:10560
	ds_write_b128 v201, v[165:168] offset:8448
	s_waitcnt vmcnt(0) lgkmcnt(1)
	v_mul_f64 v[165:166], v[159:160], v[163:164]
	v_fma_f64 v[165:166], v[157:158], v[161:162], -v[165:166]
	v_mul_f64 v[157:158], v[157:158], v[163:164]
	v_fma_f64 v[167:168], v[159:160], v[161:162], v[157:158]
	global_load_dwordx4 v[161:164], v[169:170], off offset:3136
	ds_read_b128 v[157:160], v201 offset:12672
	v_add_co_u32_e32 v169, vcc, s6, v210
	v_addc_co_u32_e32 v170, vcc, 0, v156, vcc
	s_mov_b32 s6, 0xa000
	ds_write_b128 v201, v[165:168] offset:10560
	;; [unrolled: 19-line block ×3, first 2 shown]
	s_mov_b32 s7, 0xbfed1bb4
	s_mov_b32 s24, s6
	s_waitcnt vmcnt(0) lgkmcnt(1)
	v_mul_f64 v[165:166], v[159:160], v[163:164]
	v_fma_f64 v[165:166], v[157:158], v[161:162], -v[165:166]
	v_mul_f64 v[157:158], v[157:158], v[163:164]
	v_fma_f64 v[167:168], v[159:160], v[161:162], v[157:158]
	global_load_dwordx4 v[161:164], v[169:170], off offset:1280
	ds_read_b128 v[157:160], v201 offset:19008
	ds_write_b128 v201, v[165:168] offset:16896
	s_waitcnt vmcnt(0) lgkmcnt(1)
	v_mul_f64 v[165:166], v[159:160], v[163:164]
	v_fma_f64 v[165:166], v[157:158], v[161:162], -v[165:166]
	v_mul_f64 v[156:157], v[157:158], v[163:164]
	v_fma_f64 v[167:168], v[159:160], v[161:162], v[156:157]
	global_load_dwordx4 v[160:163], v[169:170], off offset:3392
	ds_read_b128 v[156:159], v201 offset:21120
	ds_write_b128 v201, v[165:168] offset:19008
	s_waitcnt vmcnt(0) lgkmcnt(1)
	v_mul_f64 v[164:165], v[158:159], v[162:163]
	v_fma_f64 v[164:165], v[156:157], v[160:161], -v[164:165]
	v_mul_f64 v[156:157], v[156:157], v[162:163]
	v_fma_f64 v[166:167], v[158:159], v[160:161], v[156:157]
	ds_write_b128 v201, v[164:167] offset:21120
	s_waitcnt lgkmcnt(0)
	s_barrier
	ds_read_b128 v[192:195], v201
	ds_read_b128 v[196:199], v201 offset:2112
	ds_read_b128 v[184:187], v201 offset:4224
	;; [unrolled: 1-line block ×10, first 2 shown]
	s_waitcnt lgkmcnt(9)
	v_add_f64 v[156:157], v[192:193], v[196:197]
	v_add_f64 v[158:159], v[194:195], v[198:199]
	s_waitcnt lgkmcnt(0)
	s_barrier
	v_add_f64 v[216:217], v[198:199], v[212:213]
	v_add_f64 v[198:199], v[198:199], -v[212:213]
	v_add_f64 v[214:215], v[196:197], v[210:211]
	v_add_f64 v[196:197], v[196:197], -v[210:211]
	v_add_f64 v[156:157], v[156:157], v[184:185]
	v_add_f64 v[158:159], v[158:159], v[186:187]
	v_mul_f64 v[218:219], v[216:217], s[18:19]
	v_mul_f64 v[222:223], v[198:199], s[6:7]
	;; [unrolled: 1-line block ×4, first 2 shown]
	v_add_f64 v[156:157], v[156:157], v[176:177]
	v_add_f64 v[158:159], v[158:159], v[178:179]
	v_mul_f64 v[226:227], v[216:217], s[14:15]
	v_mul_f64 v[234:235], v[216:217], s[22:23]
	;; [unrolled: 1-line block ×3, first 2 shown]
	v_fma_f64 v[224:225], v[214:215], s[14:15], v[222:223]
	v_fma_f64 v[222:223], v[214:215], s[14:15], -v[222:223]
	v_fma_f64 v[232:233], v[214:215], s[22:23], v[230:231]
	v_add_f64 v[156:157], v[156:157], v[168:169]
	v_add_f64 v[158:159], v[158:159], v[170:171]
	v_fma_f64 v[230:231], v[214:215], s[22:23], -v[230:231]
	v_fma_f64 v[240:241], v[214:215], s[30:31], v[238:239]
	v_fma_f64 v[238:239], v[214:215], s[30:31], -v[238:239]
	v_mul_f64 v[216:217], v[216:217], s[38:39]
	v_fma_f64 v[220:221], v[196:197], s[20:21], v[218:219]
	v_fma_f64 v[218:219], v[196:197], s[12:13], v[218:219]
	v_add_f64 v[156:157], v[156:157], v[160:161]
	v_add_f64 v[158:159], v[158:159], v[162:163]
	;; [unrolled: 1-line block ×3, first 2 shown]
	v_fma_f64 v[228:229], v[196:197], s[24:25], v[226:227]
	v_add_f64 v[222:223], v[192:193], v[222:223]
	v_fma_f64 v[226:227], v[196:197], s[6:7], v[226:227]
	v_add_f64 v[232:233], v[192:193], v[232:233]
	;; [unrolled: 2-line block ×3, first 2 shown]
	v_add_f64 v[158:159], v[158:159], v[166:167]
	v_add_f64 v[230:231], v[192:193], v[230:231]
	v_fma_f64 v[234:235], v[196:197], s[16:17], v[234:235]
	v_add_f64 v[240:241], v[192:193], v[240:241]
	v_fma_f64 v[244:245], v[196:197], s[34:35], v[242:243]
	v_add_f64 v[238:239], v[192:193], v[238:239]
	v_fma_f64 v[242:243], v[196:197], s[28:29], v[242:243]
	v_add_f64 v[156:157], v[156:157], v[172:173]
	v_add_f64 v[158:159], v[158:159], v[174:175]
	v_fma_f64 v[248:249], v[196:197], s[40:41], v[216:217]
	v_fma_f64 v[196:197], v[196:197], s[36:37], v[216:217]
	v_add_f64 v[220:221], v[194:195], v[220:221]
	v_add_f64 v[218:219], v[194:195], v[218:219]
	;; [unrolled: 1-line block ×15, first 2 shown]
	v_add_f64 v[184:185], v[184:185], -v[188:189]
	v_add_f64 v[156:157], v[156:157], v[210:211]
	v_mul_f64 v[210:211], v[198:199], s[12:13]
	v_mul_f64 v[198:199], v[198:199], s[36:37]
	v_add_f64 v[158:159], v[158:159], v[212:213]
	v_fma_f64 v[212:213], v[214:215], s[18:19], v[210:211]
	v_fma_f64 v[210:211], v[214:215], s[18:19], -v[210:211]
	v_fma_f64 v[246:247], v[214:215], s[38:39], v[198:199]
	v_fma_f64 v[198:199], v[214:215], s[38:39], -v[198:199]
	v_add_f64 v[212:213], v[192:193], v[212:213]
	v_add_f64 v[210:211], v[192:193], v[210:211]
	;; [unrolled: 1-line block ×5, first 2 shown]
	v_add_f64 v[186:187], v[186:187], -v[190:191]
	v_mul_f64 v[188:189], v[186:187], s[6:7]
	v_fma_f64 v[190:191], v[196:197], s[14:15], v[188:189]
	v_fma_f64 v[188:189], v[196:197], s[14:15], -v[188:189]
	v_add_f64 v[190:191], v[190:191], v[212:213]
	v_mul_f64 v[212:213], v[198:199], s[14:15]
	v_add_f64 v[188:189], v[188:189], v[210:211]
	v_fma_f64 v[214:215], v[184:185], s[24:25], v[212:213]
	v_fma_f64 v[210:211], v[184:185], s[6:7], v[212:213]
	v_mul_f64 v[212:213], v[186:187], s[28:29]
	v_add_f64 v[214:215], v[214:215], v[220:221]
	v_add_f64 v[210:211], v[210:211], v[218:219]
	v_fma_f64 v[216:217], v[196:197], s[30:31], v[212:213]
	v_mul_f64 v[218:219], v[198:199], s[30:31]
	v_fma_f64 v[212:213], v[196:197], s[30:31], -v[212:213]
	v_add_f64 v[216:217], v[216:217], v[224:225]
	v_fma_f64 v[220:221], v[184:185], s[34:35], v[218:219]
	v_add_f64 v[212:213], v[212:213], v[222:223]
	v_fma_f64 v[218:219], v[184:185], s[28:29], v[218:219]
	v_mul_f64 v[222:223], v[186:187], s[40:41]
	v_add_f64 v[220:221], v[220:221], v[228:229]
	v_add_f64 v[218:219], v[218:219], v[226:227]
	v_fma_f64 v[224:225], v[196:197], s[38:39], v[222:223]
	v_mul_f64 v[226:227], v[198:199], s[38:39]
	v_fma_f64 v[222:223], v[196:197], s[38:39], -v[222:223]
	v_add_f64 v[224:225], v[224:225], v[232:233]
	v_fma_f64 v[228:229], v[184:185], s[36:37], v[226:227]
	v_add_f64 v[222:223], v[222:223], v[230:231]
	v_fma_f64 v[226:227], v[184:185], s[40:41], v[226:227]
	v_mul_f64 v[230:231], v[186:187], s[26:27]
	v_mul_f64 v[186:187], v[186:187], s[20:21]
	v_add_f64 v[228:229], v[228:229], v[236:237]
	v_add_f64 v[226:227], v[226:227], v[234:235]
	v_fma_f64 v[232:233], v[196:197], s[22:23], v[230:231]
	v_mul_f64 v[234:235], v[198:199], s[22:23]
	v_mul_f64 v[198:199], v[198:199], s[18:19]
	v_fma_f64 v[230:231], v[196:197], s[22:23], -v[230:231]
	v_add_f64 v[232:233], v[232:233], v[240:241]
	v_fma_f64 v[236:237], v[184:185], s[16:17], v[234:235]
	v_fma_f64 v[234:235], v[184:185], s[26:27], v[234:235]
	;; [unrolled: 1-line block ×4, first 2 shown]
	v_add_f64 v[230:231], v[230:231], v[238:239]
	v_fma_f64 v[238:239], v[196:197], s[18:19], v[186:187]
	v_fma_f64 v[186:187], v[196:197], s[18:19], -v[186:187]
	v_add_f64 v[236:237], v[236:237], v[244:245]
	v_add_f64 v[234:235], v[234:235], v[242:243]
	;; [unrolled: 1-line block ×5, first 2 shown]
	v_add_f64 v[178:179], v[178:179], -v[182:183]
	v_add_f64 v[186:187], v[186:187], v[192:193]
	v_add_f64 v[192:193], v[176:177], v[180:181]
	v_add_f64 v[176:177], v[176:177], -v[180:181]
	v_add_f64 v[238:239], v[238:239], v[246:247]
	v_mul_f64 v[180:181], v[178:179], s[16:17]
	v_fma_f64 v[182:183], v[192:193], s[22:23], v[180:181]
	v_fma_f64 v[180:181], v[192:193], s[22:23], -v[180:181]
	v_add_f64 v[182:183], v[182:183], v[190:191]
	v_mul_f64 v[190:191], v[194:195], s[22:23]
	v_add_f64 v[180:181], v[180:181], v[188:189]
	v_fma_f64 v[196:197], v[176:177], s[26:27], v[190:191]
	v_fma_f64 v[188:189], v[176:177], s[16:17], v[190:191]
	v_mul_f64 v[190:191], v[178:179], s[40:41]
	v_add_f64 v[196:197], v[196:197], v[214:215]
	v_add_f64 v[188:189], v[188:189], v[210:211]
	v_fma_f64 v[198:199], v[192:193], s[38:39], v[190:191]
	v_fma_f64 v[190:191], v[192:193], s[38:39], -v[190:191]
	v_mul_f64 v[210:211], v[194:195], s[38:39]
	v_add_f64 v[198:199], v[198:199], v[216:217]
	v_add_f64 v[190:191], v[190:191], v[212:213]
	v_mul_f64 v[212:213], v[178:179], s[24:25]
	v_fma_f64 v[214:215], v[176:177], s[36:37], v[210:211]
	v_fma_f64 v[210:211], v[176:177], s[40:41], v[210:211]
	;; [unrolled: 1-line block ×3, first 2 shown]
	v_fma_f64 v[212:213], v[192:193], s[14:15], -v[212:213]
	v_add_f64 v[210:211], v[210:211], v[218:219]
	v_mul_f64 v[218:219], v[194:195], s[14:15]
	v_add_f64 v[214:215], v[214:215], v[220:221]
	v_add_f64 v[216:217], v[216:217], v[224:225]
	;; [unrolled: 1-line block ×3, first 2 shown]
	v_mul_f64 v[222:223], v[178:179], s[12:13]
	v_fma_f64 v[220:221], v[176:177], s[6:7], v[218:219]
	v_fma_f64 v[218:219], v[176:177], s[24:25], v[218:219]
	v_mul_f64 v[178:179], v[178:179], s[28:29]
	v_fma_f64 v[224:225], v[192:193], s[18:19], v[222:223]
	v_fma_f64 v[222:223], v[192:193], s[18:19], -v[222:223]
	v_add_f64 v[218:219], v[218:219], v[226:227]
	v_mul_f64 v[226:227], v[194:195], s[18:19]
	v_mul_f64 v[194:195], v[194:195], s[30:31]
	v_add_f64 v[220:221], v[220:221], v[228:229]
	v_add_f64 v[224:225], v[224:225], v[232:233]
	;; [unrolled: 1-line block ×3, first 2 shown]
	v_fma_f64 v[230:231], v[192:193], s[30:31], v[178:179]
	v_fma_f64 v[178:179], v[192:193], s[30:31], -v[178:179]
	v_fma_f64 v[228:229], v[176:177], s[20:21], v[226:227]
	v_fma_f64 v[226:227], v[176:177], s[12:13], v[226:227]
	;; [unrolled: 1-line block ×4, first 2 shown]
	v_add_f64 v[230:231], v[230:231], v[238:239]
	v_add_f64 v[178:179], v[178:179], v[186:187]
	;; [unrolled: 1-line block ×3, first 2 shown]
	v_add_f64 v[170:171], v[170:171], -v[174:175]
	v_add_f64 v[228:229], v[228:229], v[236:237]
	v_add_f64 v[176:177], v[176:177], v[184:185]
	;; [unrolled: 1-line block ×3, first 2 shown]
	v_add_f64 v[168:169], v[168:169], -v[172:173]
	v_add_f64 v[236:237], v[162:163], -v[166:167]
	v_add_f64 v[226:227], v[226:227], v[234:235]
	v_mul_f64 v[194:195], v[186:187], s[22:23]
	v_mul_f64 v[172:173], v[170:171], s[28:29]
	v_add_f64 v[232:233], v[232:233], v[240:241]
	v_add_f64 v[234:235], v[160:161], -v[164:165]
	v_fma_f64 v[174:175], v[184:185], s[30:31], v[172:173]
	v_fma_f64 v[172:173], v[184:185], s[30:31], -v[172:173]
	v_add_f64 v[174:175], v[174:175], v[182:183]
	v_mul_f64 v[182:183], v[186:187], s[30:31]
	v_add_f64 v[172:173], v[172:173], v[180:181]
	v_fma_f64 v[192:193], v[168:169], s[34:35], v[182:183]
	v_fma_f64 v[180:181], v[168:169], s[28:29], v[182:183]
	v_mul_f64 v[182:183], v[170:171], s[26:27]
	v_add_f64 v[192:193], v[192:193], v[196:197]
	v_add_f64 v[180:181], v[180:181], v[188:189]
	v_fma_f64 v[188:189], v[184:185], s[22:23], v[182:183]
	v_fma_f64 v[182:183], v[184:185], s[22:23], -v[182:183]
	v_fma_f64 v[196:197], v[168:169], s[16:17], v[194:195]
	v_add_f64 v[188:189], v[188:189], v[198:199]
	v_add_f64 v[182:183], v[182:183], v[190:191]
	v_fma_f64 v[190:191], v[168:169], s[26:27], v[194:195]
	v_mul_f64 v[194:195], v[170:171], s[12:13]
	v_add_f64 v[196:197], v[196:197], v[214:215]
	v_add_f64 v[190:191], v[190:191], v[210:211]
	v_fma_f64 v[198:199], v[184:185], s[18:19], v[194:195]
	v_fma_f64 v[194:195], v[184:185], s[18:19], -v[194:195]
	v_mul_f64 v[210:211], v[186:187], s[18:19]
	v_add_f64 v[198:199], v[198:199], v[216:217]
	v_add_f64 v[194:195], v[194:195], v[212:213]
	v_mul_f64 v[212:213], v[170:171], s[36:37]
	v_fma_f64 v[214:215], v[168:169], s[20:21], v[210:211]
	v_fma_f64 v[210:211], v[168:169], s[12:13], v[210:211]
	v_mul_f64 v[170:171], v[170:171], s[24:25]
	v_fma_f64 v[216:217], v[184:185], s[38:39], v[212:213]
	v_fma_f64 v[212:213], v[184:185], s[38:39], -v[212:213]
	v_add_f64 v[210:211], v[210:211], v[218:219]
	v_mul_f64 v[218:219], v[186:187], s[38:39]
	v_mul_f64 v[186:187], v[186:187], s[14:15]
	v_add_f64 v[214:215], v[214:215], v[220:221]
	v_add_f64 v[216:217], v[216:217], v[224:225]
	;; [unrolled: 1-line block ×3, first 2 shown]
	v_fma_f64 v[222:223], v[184:185], s[14:15], v[170:171]
	v_fma_f64 v[220:221], v[168:169], s[40:41], v[218:219]
	;; [unrolled: 1-line block ×5, first 2 shown]
	v_fma_f64 v[170:171], v[184:185], s[14:15], -v[170:171]
	v_add_f64 v[222:223], v[222:223], v[230:231]
	v_add_f64 v[230:231], v[160:161], v[164:165]
	v_mul_f64 v[160:161], v[236:237], s[36:37]
	v_add_f64 v[224:225], v[224:225], v[232:233]
	v_add_f64 v[232:233], v[162:163], v[166:167]
	;; [unrolled: 1-line block ×6, first 2 shown]
	v_fma_f64 v[162:163], v[230:231], s[38:39], v[160:161]
	v_fma_f64 v[160:161], v[230:231], s[38:39], -v[160:161]
	v_add_f64 v[168:169], v[162:163], v[174:175]
	v_mul_f64 v[162:163], v[232:233], s[38:39]
	v_fma_f64 v[164:165], v[234:235], s[40:41], v[162:163]
	v_add_f64 v[170:171], v[164:165], v[192:193]
	v_add_f64 v[164:165], v[160:161], v[172:173]
	v_fma_f64 v[160:161], v[234:235], s[36:37], v[162:163]
	v_add_f64 v[166:167], v[160:161], v[180:181]
	v_mul_f64 v[160:161], v[236:237], s[20:21]
	v_mul_f64 v[180:181], v[236:237], s[28:29]
	v_fma_f64 v[162:163], v[230:231], s[18:19], v[160:161]
	v_fma_f64 v[160:161], v[230:231], s[18:19], -v[160:161]
	v_fma_f64 v[176:177], v[230:231], s[30:31], v[180:181]
	v_fma_f64 v[180:181], v[230:231], s[30:31], -v[180:181]
	v_add_f64 v[172:173], v[162:163], v[188:189]
	v_mul_f64 v[162:163], v[232:233], s[18:19]
	v_add_f64 v[160:161], v[160:161], v[182:183]
	v_mul_f64 v[182:183], v[232:233], s[30:31]
	v_mul_f64 v[188:189], v[236:237], s[24:25]
	v_add_f64 v[176:177], v[176:177], v[198:199]
	v_mul_f64 v[198:199], v[232:233], s[22:23]
	v_add_f64 v[180:181], v[180:181], v[194:195]
	v_fma_f64 v[174:175], v[234:235], s[12:13], v[162:163]
	v_fma_f64 v[162:163], v[234:235], s[20:21], v[162:163]
	v_fma_f64 v[178:179], v[234:235], s[34:35], v[182:183]
	v_fma_f64 v[184:185], v[230:231], s[14:15], v[188:189]
	v_fma_f64 v[182:183], v[234:235], s[28:29], v[182:183]
	v_fma_f64 v[194:195], v[234:235], s[26:27], v[198:199]
	v_fma_f64 v[198:199], v[234:235], s[16:17], v[198:199]
	v_fma_f64 v[188:189], v[230:231], s[14:15], -v[188:189]
	v_add_f64 v[174:175], v[174:175], v[196:197]
	v_add_f64 v[162:163], v[162:163], v[190:191]
	v_mul_f64 v[190:191], v[232:233], s[14:15]
	v_mul_f64 v[196:197], v[236:237], s[16:17]
	v_add_f64 v[178:179], v[178:179], v[214:215]
	v_add_f64 v[184:185], v[184:185], v[216:217]
	;; [unrolled: 1-line block ×6, first 2 shown]
	v_fma_f64 v[186:187], v[234:235], s[6:7], v[190:191]
	v_fma_f64 v[192:193], v[230:231], s[22:23], v[196:197]
	v_fma_f64 v[196:197], v[230:231], s[22:23], -v[196:197]
	v_fma_f64 v[190:191], v[234:235], s[24:25], v[190:191]
	v_add_f64 v[186:187], v[186:187], v[220:221]
	v_add_f64 v[192:193], v[192:193], v[222:223]
	;; [unrolled: 1-line block ×4, first 2 shown]
	ds_write_b128 v205, v[156:159]
	ds_write_b128 v205, v[168:171] offset:16
	ds_write_b128 v205, v[172:175] offset:32
	ds_write_b128 v205, v[176:179] offset:48
	ds_write_b128 v205, v[184:187] offset:64
	ds_write_b128 v205, v[192:195] offset:80
	ds_write_b128 v205, v[196:199] offset:96
	ds_write_b128 v205, v[188:191] offset:112
	ds_write_b128 v205, v[180:183] offset:128
	ds_write_b128 v205, v[160:163] offset:144
	ds_write_b128 v205, v[164:167] offset:160
	s_waitcnt lgkmcnt(0)
	s_barrier
	ds_read_b128 v[168:171], v201
	ds_read_b128 v[192:195], v201 offset:7744
	ds_read_b128 v[180:183], v201 offset:15488
	;; [unrolled: 1-line block ×8, first 2 shown]
	s_and_saveexec_b64 s[6:7], s[0:1]
	s_cbranch_execz .LBB0_11
; %bb.10:
	ds_read_b128 v[160:163], v201 offset:6336
	ds_read_b128 v[164:167], v201 offset:14080
	;; [unrolled: 1-line block ×3, first 2 shown]
.LBB0_11:
	s_or_b64 exec, exec, s[6:7]
	s_waitcnt lgkmcnt(7)
	v_mul_f64 v[210:211], v[90:91], v[194:195]
	v_mul_f64 v[90:91], v[90:91], v[192:193]
	s_waitcnt lgkmcnt(6)
	v_mul_f64 v[212:213], v[74:75], v[182:183]
	v_mul_f64 v[74:75], v[74:75], v[180:181]
	s_waitcnt lgkmcnt(4)
	v_mul_f64 v[214:215], v[50:51], v[186:187]
	v_mul_f64 v[50:51], v[50:51], v[184:185]
	s_mov_b32 s12, 0xe8584caa
	s_mov_b32 s13, 0xbfebb67a
	v_fma_f64 v[192:193], v[88:89], v[192:193], v[210:211]
	v_fma_f64 v[88:89], v[88:89], v[194:195], -v[90:91]
	v_fma_f64 v[90:91], v[72:73], v[180:181], v[212:213]
	s_waitcnt lgkmcnt(3)
	v_mul_f64 v[180:181], v[46:47], v[190:191]
	v_mul_f64 v[46:47], v[46:47], v[188:189]
	s_waitcnt lgkmcnt(1)
	v_mul_f64 v[194:195], v[66:67], v[198:199]
	v_mul_f64 v[66:67], v[66:67], v[196:197]
	v_fma_f64 v[74:75], v[72:73], v[182:183], -v[74:75]
	v_fma_f64 v[182:183], v[48:49], v[184:185], v[214:215]
	v_fma_f64 v[184:185], v[48:49], v[186:187], -v[50:51]
	s_waitcnt lgkmcnt(0)
	v_mul_f64 v[48:49], v[62:63], v[178:179]
	v_fma_f64 v[180:181], v[44:45], v[188:189], v[180:181]
	v_fma_f64 v[44:45], v[44:45], v[190:191], -v[46:47]
	v_fma_f64 v[46:47], v[64:65], v[196:197], v[194:195]
	v_fma_f64 v[186:187], v[64:65], v[198:199], -v[66:67]
	v_mul_f64 v[50:51], v[62:63], v[176:177]
	v_mul_f64 v[62:63], v[58:59], v[166:167]
	v_add_f64 v[64:65], v[192:193], v[90:91]
	v_mul_f64 v[58:59], v[58:59], v[164:165]
	v_fma_f64 v[176:177], v[60:61], v[176:177], v[48:49]
	v_mul_f64 v[66:67], v[54:55], v[154:155]
	v_mul_f64 v[72:73], v[54:55], v[152:153]
	s_mov_b32 s7, 0x3febb67a
	v_fma_f64 v[178:179], v[60:61], v[178:179], -v[50:51]
	v_fma_f64 v[48:49], v[56:57], v[164:165], v[62:63]
	v_fma_f64 v[60:61], v[64:65], -0.5, v[168:169]
	v_add_f64 v[62:63], v[88:89], -v[74:75]
	v_fma_f64 v[54:55], v[56:57], v[166:167], -v[58:59]
	v_add_f64 v[56:57], v[88:89], v[74:75]
	v_add_f64 v[58:59], v[182:183], v[180:181]
	s_mov_b32 s6, s12
	v_add_f64 v[188:189], v[168:169], v[192:193]
	v_fma_f64 v[50:51], v[52:53], v[152:153], v[66:67]
	v_fma_f64 v[52:53], v[52:53], v[154:155], -v[72:73]
	v_fma_f64 v[72:73], v[62:63], s[12:13], v[60:61]
	v_add_f64 v[66:67], v[170:171], v[88:89]
	v_fma_f64 v[88:89], v[62:63], s[6:7], v[60:61]
	v_add_f64 v[60:61], v[184:185], v[44:45]
	v_fma_f64 v[56:57], v[56:57], -0.5, v[170:171]
	v_add_f64 v[62:63], v[192:193], -v[90:91]
	v_fma_f64 v[58:59], v[58:59], -0.5, v[172:173]
	v_add_f64 v[154:155], v[184:185], -v[44:45]
	v_add_f64 v[166:167], v[174:175], v[184:185]
	v_add_f64 v[64:65], v[188:189], v[90:91]
	;; [unrolled: 1-line block ×4, first 2 shown]
	v_fma_f64 v[60:61], v[60:61], -0.5, v[174:175]
	v_add_f64 v[170:171], v[182:183], -v[180:181]
	v_fma_f64 v[74:75], v[62:63], s[6:7], v[56:57]
	v_fma_f64 v[90:91], v[62:63], s[12:13], v[56:57]
	;; [unrolled: 1-line block ×4, first 2 shown]
	v_add_f64 v[56:57], v[46:47], v[176:177]
	v_add_f64 v[154:155], v[166:167], v[44:45]
	;; [unrolled: 1-line block ×6, first 2 shown]
	v_fma_f64 v[166:167], v[170:171], s[6:7], v[60:61]
	v_fma_f64 v[170:171], v[170:171], s[12:13], v[60:61]
	v_add_f64 v[172:173], v[156:157], v[46:47]
	v_fma_f64 v[174:175], v[56:57], -0.5, v[156:157]
	v_add_f64 v[180:181], v[186:187], -v[178:179]
	v_add_f64 v[182:183], v[158:159], v[186:187]
	v_fma_f64 v[44:45], v[44:45], -0.5, v[158:159]
	v_add_f64 v[46:47], v[46:47], -v[176:177]
	v_fma_f64 v[56:57], v[58:59], -0.5, v[160:161]
	v_add_f64 v[60:61], v[54:55], -v[52:53]
	;; [unrolled: 2-line block ×3, first 2 shown]
	v_add_f64 v[156:157], v[172:173], v[176:177]
	v_fma_f64 v[172:173], v[180:181], s[12:13], v[174:175]
	v_fma_f64 v[176:177], v[180:181], s[6:7], v[174:175]
	v_add_f64 v[158:159], v[182:183], v[178:179]
	v_fma_f64 v[174:175], v[46:47], s[6:7], v[44:45]
	v_fma_f64 v[178:179], v[46:47], s[12:13], v[44:45]
	;; [unrolled: 1-line block ×4, first 2 shown]
	s_barrier
	ds_write_b128 v206, v[64:67]
	ds_write_b128 v206, v[72:75] offset:176
	ds_write_b128 v206, v[88:91] offset:352
	ds_write_b128 v207, v[152:155]
	ds_write_b128 v207, v[164:167] offset:176
	ds_write_b128 v207, v[168:171] offset:352
	ds_write_b128 v208, v[156:159]
	ds_write_b128 v208, v[172:175] offset:176
	ds_write_b128 v208, v[176:179] offset:352
	s_and_saveexec_b64 s[12:13], s[0:1]
	s_cbranch_execz .LBB0_13
; %bb.12:
	v_mul_f64 v[62:63], v[62:63], s[6:7]
	v_add_f64 v[64:65], v[54:55], v[162:163]
	v_add_f64 v[48:49], v[160:161], v[48:49]
	v_mul_f64 v[66:67], v[60:61], s[6:7]
	v_add_f64 v[54:55], v[62:63], v[58:59]
	v_add_f64 v[60:61], v[52:53], v[64:65]
	;; [unrolled: 1-line block ×3, first 2 shown]
	v_add_f64 v[52:53], v[56:57], -v[66:67]
	v_mad_legacy_u16 v48, v203, 33, v204
	v_lshlrev_b32_e32 v48, 4, v48
	ds_write_b128 v48, v[58:61]
	ds_write_b128 v48, v[52:55] offset:176
	ds_write_b128 v48, v[44:47] offset:352
.LBB0_13:
	s_or_b64 exec, exec, s[12:13]
	s_waitcnt lgkmcnt(0)
	s_barrier
	ds_read_b128 v[48:51], v201 offset:2112
	ds_read_b128 v[56:59], v201 offset:6336
	;; [unrolled: 1-line block ×3, first 2 shown]
	s_mov_b32 s14, 0xf8bb580b
	s_mov_b32 s0, 0x8eee2c13
	s_waitcnt lgkmcnt(2)
	v_mul_f64 v[60:61], v[114:115], v[50:51]
	v_mul_f64 v[62:63], v[114:115], v[48:49]
	s_waitcnt lgkmcnt(1)
	v_mul_f64 v[72:73], v[86:87], v[58:59]
	v_mul_f64 v[74:75], v[86:87], v[56:57]
	s_mov_b32 s18, 0x43842ef
	s_mov_b32 s26, 0xbb3a28a1
	;; [unrolled: 1-line block ×4, first 2 shown]
	v_fma_f64 v[88:89], v[112:113], v[48:49], v[60:61]
	v_fma_f64 v[90:91], v[112:113], v[50:51], -v[62:63]
	ds_read_b128 v[60:63], v201
	s_waitcnt lgkmcnt(1)
	v_mul_f64 v[64:65], v[106:107], v[54:55]
	v_mul_f64 v[66:67], v[106:107], v[52:53]
	ds_read_b128 v[48:51], v201 offset:8448
	v_fma_f64 v[112:113], v[84:85], v[56:57], v[72:73]
	v_fma_f64 v[84:85], v[84:85], v[58:59], -v[74:75]
	s_mov_b32 s1, 0xbfed1bb4
	s_mov_b32 s19, 0xbfefac9e
	;; [unrolled: 1-line block ×3, first 2 shown]
	v_fma_f64 v[86:87], v[104:105], v[52:53], v[64:65]
	v_fma_f64 v[104:105], v[104:105], v[54:55], -v[66:67]
	ds_read_b128 v[52:55], v201 offset:10560
	s_waitcnt lgkmcnt(2)
	v_add_f64 v[64:65], v[60:61], v[88:89]
	v_add_f64 v[66:67], v[62:63], v[90:91]
	s_waitcnt lgkmcnt(1)
	v_mul_f64 v[106:107], v[78:79], v[50:51]
	v_mul_f64 v[78:79], v[78:79], v[48:49]
	s_waitcnt lgkmcnt(0)
	v_mul_f64 v[114:115], v[110:111], v[54:55]
	v_mul_f64 v[110:111], v[110:111], v[52:53]
	s_mov_b32 s35, 0xbfd207e7
	s_mov_b32 s6, 0x8764f0ba
	v_add_f64 v[72:73], v[64:65], v[86:87]
	v_add_f64 v[74:75], v[66:67], v[104:105]
	v_fma_f64 v[106:107], v[76:77], v[48:49], v[106:107]
	v_fma_f64 v[152:153], v[76:77], v[50:51], -v[78:79]
	ds_read_b128 v[56:59], v201 offset:12672
	ds_read_b128 v[64:67], v201 offset:14784
	v_fma_f64 v[52:53], v[108:109], v[52:53], v[114:115]
	v_fma_f64 v[54:55], v[108:109], v[54:55], -v[110:111]
	s_mov_b32 s12, 0xd9c712b6
	v_add_f64 v[154:155], v[72:73], v[112:113]
	v_add_f64 v[156:157], v[74:75], v[84:85]
	s_waitcnt lgkmcnt(1)
	v_mul_f64 v[158:159], v[94:95], v[58:59]
	v_mul_f64 v[94:95], v[94:95], v[56:57]
	ds_read_b128 v[48:51], v201 offset:16896
	ds_read_b128 v[72:75], v201 offset:19008
	;; [unrolled: 1-line block ×3, first 2 shown]
	s_waitcnt lgkmcnt(3)
	v_mul_f64 v[114:115], v[82:83], v[66:67]
	v_mul_f64 v[82:83], v[82:83], v[64:65]
	s_mov_b32 s28, 0x7f775887
	v_add_f64 v[108:109], v[154:155], v[106:107]
	v_add_f64 v[110:111], v[156:157], v[152:153]
	v_fma_f64 v[56:57], v[92:93], v[56:57], v[158:159]
	v_fma_f64 v[58:59], v[92:93], v[58:59], -v[94:95]
	s_mov_b32 s36, 0x9bcd5057
	v_fma_f64 v[64:65], v[80:81], v[64:65], v[114:115]
	v_fma_f64 v[66:67], v[80:81], v[66:67], -v[82:83]
	s_mov_b32 s7, 0x3feaeb8c
	v_add_f64 v[92:93], v[108:109], v[52:53]
	v_add_f64 v[94:95], v[110:111], v[54:55]
	s_waitcnt lgkmcnt(0)
	v_mul_f64 v[108:109], v[102:103], v[76:77]
	v_mul_f64 v[110:111], v[70:71], v[50:51]
	;; [unrolled: 1-line block ×3, first 2 shown]
	s_mov_b32 s13, 0x3fda9628
	s_mov_b32 s29, 0xbfe4f49e
	;; [unrolled: 1-line block ×3, first 2 shown]
	v_add_f64 v[80:81], v[92:93], v[56:57]
	v_add_f64 v[82:83], v[94:95], v[58:59]
	v_mul_f64 v[92:93], v[102:103], v[78:79]
	v_fma_f64 v[78:79], v[100:101], v[78:79], -v[108:109]
	v_mul_f64 v[94:95], v[98:99], v[74:75]
	v_mul_f64 v[98:99], v[98:99], v[72:73]
	v_fma_f64 v[102:103], v[68:69], v[48:49], v[110:111]
	v_fma_f64 v[68:69], v[68:69], v[50:51], -v[70:71]
	v_add_f64 v[48:49], v[80:81], v[64:65]
	v_add_f64 v[50:51], v[82:83], v[66:67]
	v_fma_f64 v[70:71], v[100:101], v[76:77], v[92:93]
	v_add_f64 v[76:77], v[90:91], -v[78:79]
	v_fma_f64 v[72:73], v[96:97], v[72:73], v[94:95]
	v_fma_f64 v[74:75], v[96:97], v[74:75], -v[98:99]
	v_add_f64 v[80:81], v[90:91], v[78:79]
	s_mov_b32 s20, s14
	v_add_f64 v[48:49], v[48:49], v[102:103]
	v_add_f64 v[50:51], v[50:51], v[68:69]
	;; [unrolled: 1-line block ×3, first 2 shown]
	v_mul_f64 v[90:91], v[76:77], s[14:15]
	v_mul_f64 v[96:97], v[76:77], s[0:1]
	;; [unrolled: 1-line block ×5, first 2 shown]
	v_add_f64 v[88:89], v[88:89], -v[70:71]
	v_mul_f64 v[92:93], v[80:81], s[6:7]
	v_add_f64 v[48:49], v[48:49], v[72:73]
	v_add_f64 v[50:51], v[50:51], v[74:75]
	v_fma_f64 v[94:95], v[82:83], s[6:7], v[90:91]
	v_mul_f64 v[98:99], v[80:81], s[12:13]
	v_mul_f64 v[114:115], v[80:81], s[22:23]
	;; [unrolled: 1-line block ×4, first 2 shown]
	v_add_f64 v[164:165], v[104:105], -v[74:75]
	v_add_f64 v[74:75], v[104:105], v[74:75]
	v_fma_f64 v[104:105], v[82:83], s[36:37], v[76:77]
	s_mov_b32 s17, 0x3fed1bb4
	s_mov_b32 s16, s0
	;; [unrolled: 1-line block ×8, first 2 shown]
	v_fma_f64 v[100:101], v[88:89], s[20:21], v[92:93]
	v_add_f64 v[48:49], v[48:49], v[70:71]
	v_add_f64 v[50:51], v[50:51], v[78:79]
	v_fma_f64 v[70:71], v[82:83], s[6:7], -v[90:91]
	v_add_f64 v[78:79], v[60:61], v[94:95]
	v_fma_f64 v[90:91], v[88:89], s[14:15], v[92:93]
	v_fma_f64 v[92:93], v[82:83], s[12:13], v[96:97]
	v_fma_f64 v[94:95], v[88:89], s[16:17], v[98:99]
	v_fma_f64 v[96:97], v[82:83], s[12:13], -v[96:97]
	v_fma_f64 v[98:99], v[88:89], s[0:1], v[98:99]
	v_fma_f64 v[110:111], v[82:83], s[22:23], v[108:109]
	v_fma_f64 v[158:159], v[88:89], s[24:25], v[114:115]
	v_fma_f64 v[108:109], v[82:83], s[22:23], -v[108:109]
	;; [unrolled: 4-line block ×3, first 2 shown]
	v_fma_f64 v[156:157], v[88:89], s[26:27], v[156:157]
	v_fma_f64 v[166:167], v[88:89], s[38:39], v[80:81]
	v_add_f64 v[168:169], v[86:87], v[72:73]
	v_add_f64 v[72:73], v[86:87], -v[72:73]
	v_mul_f64 v[86:87], v[164:165], s[0:1]
	v_mul_f64 v[170:171], v[74:75], s[12:13]
	v_fma_f64 v[76:77], v[82:83], s[36:37], -v[76:77]
	v_fma_f64 v[80:81], v[88:89], s[34:35], v[80:81]
	v_add_f64 v[82:83], v[60:61], v[104:105]
	v_mul_f64 v[104:105], v[164:165], s[26:27]
	v_add_f64 v[100:101], v[62:63], v[100:101]
	v_add_f64 v[70:71], v[60:61], v[70:71]
	;; [unrolled: 1-line block ×16, first 2 shown]
	v_mul_f64 v[166:167], v[74:75], s[28:29]
	v_fma_f64 v[172:173], v[168:169], s[12:13], v[86:87]
	v_fma_f64 v[174:175], v[72:73], s[16:17], v[170:171]
	v_add_f64 v[60:61], v[60:61], v[76:77]
	v_add_f64 v[62:63], v[62:63], v[80:81]
	v_fma_f64 v[76:77], v[168:169], s[12:13], -v[86:87]
	v_fma_f64 v[80:81], v[72:73], s[0:1], v[170:171]
	v_fma_f64 v[86:87], v[168:169], s[28:29], v[104:105]
	;; [unrolled: 1-line block ×3, first 2 shown]
	v_add_f64 v[78:79], v[172:173], v[78:79]
	v_add_f64 v[100:101], v[174:175], v[100:101]
	v_mul_f64 v[172:173], v[164:165], s[38:39]
	v_mul_f64 v[174:175], v[74:75], s[36:37]
	v_add_f64 v[70:71], v[76:77], v[70:71]
	v_add_f64 v[76:77], v[80:81], v[90:91]
	;; [unrolled: 1-line block ×3, first 2 shown]
	v_fma_f64 v[92:93], v[72:73], s[26:27], v[166:167]
	v_mul_f64 v[166:167], v[164:165], s[24:25]
	v_add_f64 v[86:87], v[170:171], v[94:95]
	v_fma_f64 v[90:91], v[168:169], s[28:29], -v[104:105]
	v_fma_f64 v[94:95], v[168:169], s[36:37], v[172:173]
	v_fma_f64 v[104:105], v[72:73], s[34:35], v[174:175]
	v_mul_f64 v[170:171], v[74:75], s[22:23]
	v_fma_f64 v[174:175], v[72:73], s[38:39], v[174:175]
	v_add_f64 v[92:93], v[92:93], v[98:99]
	v_fma_f64 v[98:99], v[168:169], s[22:23], v[166:167]
	v_mul_f64 v[164:165], v[164:165], s[20:21]
	v_add_f64 v[90:91], v[90:91], v[96:97]
	v_add_f64 v[94:95], v[94:95], v[110:111]
	;; [unrolled: 1-line block ×3, first 2 shown]
	v_fma_f64 v[158:159], v[72:73], s[24:25], v[170:171]
	v_add_f64 v[110:111], v[174:175], v[114:115]
	v_fma_f64 v[114:115], v[168:169], s[22:23], -v[166:167]
	v_mul_f64 v[74:75], v[74:75], s[6:7]
	v_add_f64 v[98:99], v[98:99], v[160:161]
	v_add_f64 v[160:161], v[84:85], -v[68:69]
	v_fma_f64 v[104:105], v[72:73], s[18:19], v[170:171]
	v_add_f64 v[68:69], v[84:85], v[68:69]
	v_fma_f64 v[172:173], v[168:169], s[36:37], -v[172:173]
	v_add_f64 v[84:85], v[114:115], v[154:155]
	v_add_f64 v[114:115], v[158:159], v[156:157]
	v_fma_f64 v[154:155], v[168:169], s[6:7], v[164:165]
	v_fma_f64 v[156:157], v[72:73], s[14:15], v[74:75]
	v_add_f64 v[158:159], v[112:113], v[102:103]
	v_add_f64 v[102:103], v[112:113], -v[102:103]
	v_mul_f64 v[112:113], v[160:161], s[18:19]
	v_add_f64 v[104:105], v[104:105], v[162:163]
	v_mul_f64 v[162:163], v[68:69], s[22:23]
	v_fma_f64 v[164:165], v[168:169], s[6:7], -v[164:165]
	v_fma_f64 v[72:73], v[72:73], s[20:21], v[74:75]
	v_add_f64 v[74:75], v[154:155], v[82:83]
	v_add_f64 v[82:83], v[156:157], v[88:89]
	v_mul_f64 v[88:89], v[160:161], s[38:39]
	v_mul_f64 v[154:155], v[68:69], s[36:37]
	v_fma_f64 v[156:157], v[158:159], s[22:23], v[112:113]
	v_fma_f64 v[166:167], v[102:103], s[24:25], v[162:163]
	v_add_f64 v[60:61], v[164:165], v[60:61]
	v_add_f64 v[62:63], v[72:73], v[62:63]
	v_fma_f64 v[72:73], v[158:159], s[22:23], -v[112:113]
	v_fma_f64 v[112:113], v[102:103], s[18:19], v[162:163]
	v_fma_f64 v[162:163], v[158:159], s[36:37], v[88:89]
	;; [unrolled: 1-line block ×3, first 2 shown]
	v_add_f64 v[78:79], v[156:157], v[78:79]
	v_mul_f64 v[156:157], v[160:161], s[16:17]
	v_add_f64 v[100:101], v[166:167], v[100:101]
	v_mul_f64 v[166:167], v[68:69], s[12:13]
	v_add_f64 v[70:71], v[72:73], v[70:71]
	v_add_f64 v[72:73], v[112:113], v[76:77]
	;; [unrolled: 1-line block ×4, first 2 shown]
	v_fma_f64 v[86:87], v[158:159], s[36:37], -v[88:89]
	v_fma_f64 v[112:113], v[158:159], s[12:13], v[156:157]
	v_mul_f64 v[162:163], v[160:161], s[14:15]
	v_fma_f64 v[88:89], v[102:103], s[38:39], v[154:155]
	v_fma_f64 v[154:155], v[102:103], s[0:1], v[166:167]
	v_add_f64 v[108:109], v[172:173], v[108:109]
	v_mul_f64 v[164:165], v[68:69], s[6:7]
	v_fma_f64 v[156:157], v[158:159], s[12:13], -v[156:157]
	v_add_f64 v[86:87], v[86:87], v[90:91]
	v_add_f64 v[90:91], v[112:113], v[94:95]
	v_fma_f64 v[94:95], v[158:159], s[6:7], v[162:163]
	v_add_f64 v[88:89], v[88:89], v[92:93]
	v_add_f64 v[92:93], v[154:155], v[96:97]
	v_mul_f64 v[68:69], v[68:69], s[28:29]
	v_fma_f64 v[154:155], v[158:159], s[6:7], -v[162:163]
	v_fma_f64 v[96:97], v[102:103], s[20:21], v[164:165]
	v_add_f64 v[108:109], v[156:157], v[108:109]
	v_mul_f64 v[112:113], v[160:161], s[26:27]
	v_add_f64 v[94:95], v[94:95], v[98:99]
	v_add_f64 v[98:99], v[152:153], -v[66:67]
	v_fma_f64 v[156:157], v[102:103], s[14:15], v[164:165]
	v_add_f64 v[66:67], v[152:153], v[66:67]
	v_fma_f64 v[152:153], v[102:103], s[30:31], v[68:69]
	v_add_f64 v[84:85], v[154:155], v[84:85]
	v_add_f64 v[154:155], v[106:107], v[64:65]
	v_add_f64 v[64:65], v[106:107], -v[64:65]
	v_add_f64 v[96:97], v[96:97], v[104:105]
	v_mul_f64 v[106:107], v[98:99], s[26:27]
	v_fma_f64 v[104:105], v[158:159], s[28:29], v[112:113]
	v_add_f64 v[114:115], v[156:157], v[114:115]
	v_mul_f64 v[156:157], v[66:67], s[28:29]
	v_add_f64 v[82:83], v[152:153], v[82:83]
	v_fma_f64 v[166:167], v[102:103], s[16:17], v[166:167]
	v_fma_f64 v[68:69], v[102:103], s[26:27], v[68:69]
	v_mul_f64 v[102:103], v[98:99], s[24:25]
	v_fma_f64 v[152:153], v[154:155], s[28:29], v[106:107]
	v_fma_f64 v[106:107], v[154:155], s[28:29], -v[106:107]
	v_add_f64 v[74:75], v[104:105], v[74:75]
	v_fma_f64 v[104:105], v[158:159], s[28:29], -v[112:113]
	v_mul_f64 v[112:113], v[66:67], s[22:23]
	v_fma_f64 v[158:159], v[64:65], s[30:31], v[156:157]
	v_fma_f64 v[156:157], v[64:65], s[26:27], v[156:157]
	v_add_f64 v[110:111], v[166:167], v[110:111]
	v_add_f64 v[78:79], v[152:153], v[78:79]
	;; [unrolled: 1-line block ×3, first 2 shown]
	v_mul_f64 v[106:107], v[98:99], s[14:15]
	v_mul_f64 v[152:153], v[66:67], s[6:7]
	v_add_f64 v[60:61], v[104:105], v[60:61]
	v_add_f64 v[62:63], v[68:69], v[62:63]
	v_fma_f64 v[68:69], v[154:155], s[22:23], v[102:103]
	v_fma_f64 v[104:105], v[64:65], s[18:19], v[112:113]
	v_add_f64 v[100:101], v[158:159], v[100:101]
	v_add_f64 v[72:73], v[156:157], v[72:73]
	v_fma_f64 v[102:103], v[154:155], s[22:23], -v[102:103]
	v_fma_f64 v[156:157], v[154:155], s[6:7], v[106:107]
	v_fma_f64 v[158:159], v[64:65], s[20:21], v[152:153]
	v_fma_f64 v[106:107], v[154:155], s[6:7], -v[106:107]
	v_fma_f64 v[152:153], v[64:65], s[14:15], v[152:153]
	v_add_f64 v[68:69], v[68:69], v[76:77]
	v_add_f64 v[76:77], v[104:105], v[80:81]
	v_mul_f64 v[80:81], v[98:99], s[34:35]
	v_mul_f64 v[104:105], v[66:67], s[36:37]
	v_fma_f64 v[112:113], v[64:65], s[24:25], v[112:113]
	v_add_f64 v[86:87], v[102:103], v[86:87]
	v_add_f64 v[102:103], v[106:107], v[108:109]
	v_add_f64 v[106:107], v[152:153], v[110:111]
	v_add_f64 v[108:109], v[54:55], -v[58:59]
	v_add_f64 v[110:111], v[54:55], v[58:59]
	v_mul_f64 v[54:55], v[98:99], s[16:17]
	v_fma_f64 v[160:161], v[154:155], s[36:37], v[80:81]
	v_fma_f64 v[162:163], v[64:65], s[38:39], v[104:105]
	v_add_f64 v[88:89], v[112:113], v[88:89]
	v_mul_f64 v[58:59], v[66:67], s[12:13]
	v_fma_f64 v[66:67], v[154:155], s[36:37], -v[80:81]
	v_fma_f64 v[80:81], v[64:65], s[34:35], v[104:105]
	v_add_f64 v[98:99], v[52:53], v[56:57]
	v_add_f64 v[104:105], v[52:53], -v[56:57]
	v_mul_f64 v[52:53], v[108:109], s[34:35]
	v_fma_f64 v[112:113], v[154:155], s[12:13], v[54:55]
	v_mul_f64 v[56:57], v[110:111], s[36:37]
	v_fma_f64 v[152:153], v[64:65], s[0:1], v[58:59]
	v_fma_f64 v[54:55], v[154:155], s[12:13], -v[54:55]
	v_add_f64 v[114:115], v[80:81], v[114:115]
	v_fma_f64 v[58:59], v[64:65], s[16:17], v[58:59]
	v_mul_f64 v[80:81], v[110:111], s[6:7]
	v_fma_f64 v[64:65], v[98:99], s[36:37], v[52:53]
	v_add_f64 v[112:113], v[112:113], v[74:75]
	v_mul_f64 v[74:75], v[108:109], s[20:21]
	v_add_f64 v[90:91], v[156:157], v[90:91]
	v_add_f64 v[152:153], v[152:153], v[82:83]
	;; [unrolled: 1-line block ×4, first 2 shown]
	v_fma_f64 v[52:53], v[98:99], s[36:37], -v[52:53]
	v_add_f64 v[64:65], v[64:65], v[78:79]
	v_fma_f64 v[54:55], v[104:105], s[34:35], v[56:57]
	v_fma_f64 v[60:61], v[98:99], s[6:7], v[74:75]
	;; [unrolled: 1-line block ×3, first 2 shown]
	v_mul_f64 v[78:79], v[108:109], s[26:27]
	v_mul_f64 v[82:83], v[110:111], s[28:29]
	v_fma_f64 v[80:81], v[104:105], s[20:21], v[80:81]
	v_fma_f64 v[74:75], v[98:99], s[6:7], -v[74:75]
	v_add_f64 v[92:93], v[158:159], v[92:93]
	v_add_f64 v[84:85], v[66:67], v[84:85]
	v_fma_f64 v[66:67], v[104:105], s[38:39], v[56:57]
	v_add_f64 v[56:57], v[52:53], v[70:71]
	v_add_f64 v[58:59], v[54:55], v[72:73]
	;; [unrolled: 1-line block ×4, first 2 shown]
	v_fma_f64 v[60:61], v[98:99], s[28:29], v[78:79]
	v_fma_f64 v[62:63], v[104:105], s[30:31], v[82:83]
	v_add_f64 v[54:55], v[80:81], v[88:89]
	v_fma_f64 v[76:77], v[98:99], s[28:29], -v[78:79]
	v_fma_f64 v[78:79], v[104:105], s[26:27], v[82:83]
	v_mul_f64 v[80:81], v[108:109], s[16:17]
	v_mul_f64 v[82:83], v[110:111], s[12:13]
	v_add_f64 v[52:53], v[74:75], v[86:87]
	v_mul_f64 v[86:87], v[108:109], s[18:19]
	v_mul_f64 v[88:89], v[110:111], s[22:23]
	v_add_f64 v[94:95], v[160:161], v[94:95]
	v_add_f64 v[96:97], v[162:163], v[96:97]
	;; [unrolled: 1-line block ×6, first 2 shown]
	v_fma_f64 v[76:77], v[98:99], s[12:13], v[80:81]
	v_fma_f64 v[78:79], v[104:105], s[0:1], v[82:83]
	v_fma_f64 v[80:81], v[98:99], s[12:13], -v[80:81]
	v_fma_f64 v[90:91], v[98:99], s[22:23], v[86:87]
	v_fma_f64 v[92:93], v[104:105], s[24:25], v[88:89]
	v_add_f64 v[66:67], v[66:67], v[100:101]
	v_fma_f64 v[98:99], v[98:99], s[22:23], -v[86:87]
	v_fma_f64 v[100:101], v[104:105], s[18:19], v[88:89]
	v_fma_f64 v[82:83], v[104:105], s[16:17], v[82:83]
	v_add_f64 v[76:77], v[76:77], v[94:95]
	v_add_f64 v[78:79], v[78:79], v[96:97]
	;; [unrolled: 1-line block ×8, first 2 shown]
	s_barrier
	ds_write_b128 v209, v[48:51]
	ds_write_b128 v209, v[64:67] offset:528
	ds_write_b128 v209, v[68:71] offset:1056
	;; [unrolled: 1-line block ×10, first 2 shown]
	s_waitcnt lgkmcnt(0)
	s_barrier
	ds_read_b128 v[48:51], v201
	ds_read_b128 v[64:67], v201 offset:2112
	ds_read_b128 v[84:87], v201 offset:5808
	;; [unrolled: 1-line block ×7, first 2 shown]
	s_and_saveexec_b64 s[0:1], s[2:3]
	s_cbranch_execz .LBB0_15
; %bb.14:
	ds_read_b128 v[60:63], v201 offset:4224
	ds_read_b128 v[52:55], v201 offset:10032
	;; [unrolled: 1-line block ×4, first 2 shown]
.LBB0_15:
	s_or_b64 exec, exec, s[0:1]
	s_waitcnt lgkmcnt(5)
	v_mul_f64 v[92:93], v[150:151], v[86:87]
	v_mul_f64 v[94:95], v[150:151], v[84:85]
	s_waitcnt lgkmcnt(3)
	v_mul_f64 v[96:97], v[134:135], v[90:91]
	v_mul_f64 v[98:99], v[134:135], v[88:89]
	;; [unrolled: 3-line block ×4, first 2 shown]
	v_fma_f64 v[84:85], v[148:149], v[84:85], v[92:93]
	v_mul_f64 v[92:93], v[130:131], v[80:81]
	v_fma_f64 v[86:87], v[148:149], v[86:87], -v[94:95]
	v_fma_f64 v[88:89], v[132:133], v[88:89], v[96:97]
	v_fma_f64 v[90:91], v[132:133], v[90:91], -v[98:99]
	v_mul_f64 v[94:95], v[138:139], v[70:71]
	v_mul_f64 v[96:97], v[138:139], v[68:69]
	;; [unrolled: 1-line block ×3, first 2 shown]
	v_fma_f64 v[80:81], v[128:129], v[80:81], v[100:101]
	v_fma_f64 v[82:83], v[128:129], v[82:83], -v[92:93]
	v_fma_f64 v[74:75], v[144:145], v[74:75], -v[102:103]
	v_fma_f64 v[76:77], v[140:141], v[76:77], v[104:105]
	v_fma_f64 v[78:79], v[140:141], v[78:79], -v[106:107]
	v_fma_f64 v[68:69], v[136:137], v[68:69], v[94:95]
	;; [unrolled: 2-line block ×3, first 2 shown]
	v_add_f64 v[88:89], v[48:49], -v[88:89]
	v_add_f64 v[90:91], v[50:51], -v[90:91]
	v_add_f64 v[80:81], v[84:85], -v[80:81]
	v_add_f64 v[82:83], v[86:87], -v[82:83]
	v_add_f64 v[94:95], v[66:67], -v[74:75]
	v_add_f64 v[74:75], v[68:69], -v[76:77]
	v_add_f64 v[92:93], v[64:65], -v[72:73]
	v_add_f64 v[72:73], v[70:71], -v[78:79]
	v_fma_f64 v[76:77], v[48:49], 2.0, -v[88:89]
	v_fma_f64 v[78:79], v[50:51], 2.0, -v[90:91]
	;; [unrolled: 1-line block ×8, first 2 shown]
	v_add_f64 v[64:65], v[88:89], v[82:83]
	v_add_f64 v[66:67], v[90:91], -v[80:81]
	v_add_f64 v[48:49], v[76:77], -v[48:49]
	;; [unrolled: 1-line block ×3, first 2 shown]
	v_add_f64 v[72:73], v[92:93], v[72:73]
	v_add_f64 v[74:75], v[94:95], -v[74:75]
	v_add_f64 v[68:69], v[84:85], -v[68:69]
	;; [unrolled: 1-line block ×3, first 2 shown]
	v_fma_f64 v[80:81], v[88:89], 2.0, -v[64:65]
	v_fma_f64 v[82:83], v[90:91], 2.0, -v[66:67]
	;; [unrolled: 1-line block ×8, first 2 shown]
	ds_write_b128 v201, v[76:79]
	ds_write_b128 v201, v[80:83] offset:5808
	ds_write_b128 v201, v[48:51] offset:11616
	;; [unrolled: 1-line block ×7, first 2 shown]
	s_and_saveexec_b64 s[0:1], s[2:3]
	s_cbranch_execz .LBB0_17
; %bb.16:
	v_mul_f64 v[48:49], v[126:127], v[56:57]
	v_mul_f64 v[50:51], v[118:119], v[54:55]
	;; [unrolled: 1-line block ×6, first 2 shown]
	v_fma_f64 v[48:49], v[124:125], v[58:59], -v[48:49]
	v_fma_f64 v[50:51], v[116:117], v[52:53], v[50:51]
	v_fma_f64 v[52:53], v[116:117], v[54:55], -v[64:65]
	v_fma_f64 v[46:47], v[120:121], v[46:47], -v[66:67]
	v_fma_f64 v[54:55], v[124:125], v[56:57], v[68:69]
	v_fma_f64 v[44:45], v[120:121], v[44:45], v[70:71]
	v_add_f64 v[56:57], v[62:63], -v[48:49]
	v_add_f64 v[48:49], v[52:53], -v[46:47]
	;; [unrolled: 1-line block ×4, first 2 shown]
	v_fma_f64 v[62:63], v[62:63], 2.0, -v[56:57]
	v_fma_f64 v[52:53], v[52:53], 2.0, -v[48:49]
	;; [unrolled: 1-line block ×4, first 2 shown]
	v_add_f64 v[46:47], v[56:57], -v[44:45]
	v_add_f64 v[44:45], v[58:59], v[48:49]
	v_add_f64 v[50:51], v[62:63], -v[52:53]
	v_add_f64 v[48:49], v[60:61], -v[54:55]
	v_fma_f64 v[54:55], v[56:57], 2.0, -v[46:47]
	v_fma_f64 v[52:53], v[58:59], 2.0, -v[44:45]
	;; [unrolled: 1-line block ×4, first 2 shown]
	ds_write_b128 v201, v[52:55] offset:10032
	ds_write_b128 v201, v[48:51] offset:15840
	;; [unrolled: 1-line block ×4, first 2 shown]
.LBB0_17:
	s_or_b64 exec, exec, s[0:1]
	s_waitcnt lgkmcnt(0)
	s_barrier
	ds_read_b128 v[44:47], v201
	ds_read_b128 v[48:51], v201 offset:2112
	v_mad_u64_u32 v[52:53], s[0:1], s10, v200, 0
	s_mul_i32 s2, s9, 0x840
	s_waitcnt lgkmcnt(1)
	v_mul_f64 v[54:55], v[38:39], v[46:47]
	v_mul_f64 v[38:39], v[38:39], v[44:45]
	s_mul_hi_u32 s3, s8, 0x840
	s_add_i32 s2, s3, s2
	s_mul_i32 s3, s8, 0x840
	v_mad_u64_u32 v[56:57], s[0:1], s11, v200, v[53:54]
	v_mad_u64_u32 v[57:58], s[0:1], s8, v202, 0
	v_fma_f64 v[44:45], v[36:37], v[44:45], v[54:55]
	v_fma_f64 v[38:39], v[36:37], v[46:47], -v[38:39]
	v_mov_b32_e32 v36, v58
	v_mad_u64_u32 v[46:47], s[0:1], s9, v202, v[36:37]
	s_mov_b32 s0, 0x3a88d0c0
	s_mov_b32 s1, 0x3f469147
	v_mov_b32_e32 v58, v46
	s_waitcnt lgkmcnt(0)
	v_mul_f64 v[46:47], v[18:19], v[50:51]
	v_mul_f64 v[18:19], v[18:19], v[48:49]
	v_mov_b32_e32 v53, v56
	v_mul_f64 v[36:37], v[44:45], s[0:1]
	v_mul_f64 v[38:39], v[38:39], s[0:1]
	v_lshlrev_b64 v[44:45], 4, v[52:53]
	v_mov_b32_e32 v52, s5
	v_add_co_u32_e32 v53, vcc, s4, v44
	v_fma_f64 v[46:47], v[16:17], v[48:49], v[46:47]
	v_fma_f64 v[48:49], v[16:17], v[50:51], -v[18:19]
	ds_read_b128 v[16:19], v201 offset:4224
	v_addc_co_u32_e32 v52, vcc, v52, v45, vcc
	v_lshlrev_b64 v[44:45], 4, v[57:58]
	v_mov_b32_e32 v54, s2
	v_add_co_u32_e32 v50, vcc, v53, v44
	v_addc_co_u32_e32 v51, vcc, v52, v45, vcc
	global_store_dwordx4 v[50:51], v[36:39], off
	v_add_co_u32_e32 v50, vcc, s3, v50
	v_mul_f64 v[36:37], v[46:47], s[0:1]
	ds_read_b128 v[44:47], v201 offset:6336
	s_waitcnt lgkmcnt(1)
	v_mul_f64 v[52:53], v[26:27], v[18:19]
	v_mul_f64 v[26:27], v[26:27], v[16:17]
	;; [unrolled: 1-line block ×3, first 2 shown]
	v_addc_co_u32_e32 v51, vcc, v51, v54, vcc
	s_waitcnt lgkmcnt(0)
	v_mul_f64 v[48:49], v[6:7], v[46:47]
	v_mul_f64 v[6:7], v[6:7], v[44:45]
	v_fma_f64 v[16:17], v[24:25], v[16:17], v[52:53]
	v_fma_f64 v[18:19], v[24:25], v[18:19], -v[26:27]
	ds_read_b128 v[24:27], v201 offset:8448
	global_store_dwordx4 v[50:51], v[36:39], off
	v_mov_b32_e32 v52, s2
	v_fma_f64 v[36:37], v[4:5], v[44:45], v[48:49]
	v_fma_f64 v[38:39], v[4:5], v[46:47], -v[6:7]
	ds_read_b128 v[4:7], v201 offset:10560
	v_mul_f64 v[16:17], v[16:17], s[0:1]
	v_mul_f64 v[18:19], v[18:19], s[0:1]
	s_waitcnt lgkmcnt(1)
	v_mul_f64 v[44:45], v[30:31], v[26:27]
	v_mul_f64 v[30:31], v[30:31], v[24:25]
	v_add_co_u32_e32 v46, vcc, s3, v50
	v_addc_co_u32_e32 v47, vcc, v51, v52, vcc
	global_store_dwordx4 v[46:47], v[16:19], off
	s_nop 0
	v_mul_f64 v[16:17], v[36:37], s[0:1]
	v_mul_f64 v[18:19], v[38:39], s[0:1]
	v_fma_f64 v[24:25], v[28:29], v[24:25], v[44:45]
	v_fma_f64 v[26:27], v[28:29], v[26:27], -v[30:31]
	s_waitcnt lgkmcnt(0)
	v_mul_f64 v[28:29], v[10:11], v[6:7]
	v_mul_f64 v[10:11], v[10:11], v[4:5]
	v_mov_b32_e32 v36, s2
	v_add_co_u32_e32 v30, vcc, s3, v46
	v_addc_co_u32_e32 v31, vcc, v47, v36, vcc
	global_store_dwordx4 v[30:31], v[16:19], off
	v_fma_f64 v[28:29], v[8:9], v[4:5], v[28:29]
	v_mul_f64 v[16:17], v[24:25], s[0:1]
	v_mul_f64 v[18:19], v[26:27], s[0:1]
	ds_read_b128 v[24:27], v201 offset:12672
	v_fma_f64 v[10:11], v[8:9], v[6:7], -v[10:11]
	ds_read_b128 v[4:7], v201 offset:14784
	v_mov_b32_e32 v38, s2
	v_add_co_u32_e32 v30, vcc, s3, v30
	s_waitcnt lgkmcnt(1)
	v_mul_f64 v[36:37], v[34:35], v[26:27]
	v_mul_f64 v[34:35], v[34:35], v[24:25]
	v_addc_co_u32_e32 v31, vcc, v31, v38, vcc
	global_store_dwordx4 v[30:31], v[16:19], off
	v_mul_f64 v[8:9], v[28:29], s[0:1]
	v_mul_f64 v[10:11], v[10:11], s[0:1]
	v_mov_b32_e32 v29, s2
	v_fma_f64 v[16:17], v[32:33], v[24:25], v[36:37]
	v_fma_f64 v[18:19], v[32:33], v[26:27], -v[34:35]
	s_waitcnt lgkmcnt(0)
	v_mul_f64 v[24:25], v[14:15], v[6:7]
	v_mul_f64 v[26:27], v[14:15], v[4:5]
	v_add_co_u32_e32 v28, vcc, s3, v30
	v_addc_co_u32_e32 v29, vcc, v31, v29, vcc
	global_store_dwordx4 v[28:29], v[8:11], off
	v_mov_b32_e32 v30, s2
	v_mul_f64 v[8:9], v[16:17], s[0:1]
	ds_read_b128 v[14:17], v201 offset:16896
	v_mul_f64 v[10:11], v[18:19], s[0:1]
	v_fma_f64 v[18:19], v[12:13], v[4:5], v[24:25]
	v_fma_f64 v[12:13], v[12:13], v[6:7], -v[26:27]
	ds_read_b128 v[4:7], v201 offset:19008
	s_waitcnt lgkmcnt(1)
	v_mul_f64 v[24:25], v[42:43], v[16:17]
	v_mul_f64 v[26:27], v[42:43], v[14:15]
	v_add_co_u32_e32 v28, vcc, s3, v28
	v_addc_co_u32_e32 v29, vcc, v29, v30, vcc
	global_store_dwordx4 v[28:29], v[8:11], off
	v_fma_f64 v[16:17], v[40:41], v[16:17], -v[26:27]
	v_mul_f64 v[8:9], v[18:19], s[0:1]
	v_mul_f64 v[10:11], v[12:13], s[0:1]
	v_fma_f64 v[18:19], v[40:41], v[14:15], v[24:25]
	ds_read_b128 v[12:15], v201 offset:21120
	s_waitcnt lgkmcnt(1)
	v_mul_f64 v[26:27], v[2:3], v[6:7]
	v_mul_f64 v[2:3], v[2:3], v[4:5]
	v_add_co_u32_e32 v24, vcc, s3, v28
	v_addc_co_u32_e32 v25, vcc, v29, v30, vcc
	s_waitcnt lgkmcnt(0)
	v_mul_f64 v[28:29], v[22:23], v[14:15]
	v_mul_f64 v[22:23], v[22:23], v[12:13]
	v_fma_f64 v[4:5], v[0:1], v[4:5], v[26:27]
	v_fma_f64 v[2:3], v[0:1], v[6:7], -v[2:3]
	global_store_dwordx4 v[24:25], v[8:11], off
	v_fma_f64 v[6:7], v[20:21], v[12:13], v[28:29]
	v_fma_f64 v[12:13], v[20:21], v[14:15], -v[22:23]
	v_mul_f64 v[8:9], v[18:19], s[0:1]
	v_mul_f64 v[10:11], v[16:17], s[0:1]
	;; [unrolled: 1-line block ×4, first 2 shown]
	v_mov_b32_e32 v16, s2
	v_add_co_u32_e32 v14, vcc, s3, v24
	v_mul_f64 v[4:5], v[6:7], s[0:1]
	v_mul_f64 v[6:7], v[12:13], s[0:1]
	v_addc_co_u32_e32 v15, vcc, v25, v16, vcc
	global_store_dwordx4 v[14:15], v[8:11], off
	s_nop 0
	v_mov_b32_e32 v9, s2
	v_add_co_u32_e32 v8, vcc, s3, v14
	v_addc_co_u32_e32 v9, vcc, v15, v9, vcc
	global_store_dwordx4 v[8:9], v[0:3], off
	s_nop 0
	v_mov_b32_e32 v1, s2
	v_add_co_u32_e32 v0, vcc, s3, v8
	v_addc_co_u32_e32 v1, vcc, v9, v1, vcc
	global_store_dwordx4 v[0:1], v[4:7], off
.LBB0_18:
	s_endpgm
	.section	.rodata,"a",@progbits
	.p2align	6, 0x0
	.amdhsa_kernel bluestein_single_back_len1452_dim1_dp_op_CI_CI
		.amdhsa_group_segment_fixed_size 23232
		.amdhsa_private_segment_fixed_size 0
		.amdhsa_kernarg_size 104
		.amdhsa_user_sgpr_count 6
		.amdhsa_user_sgpr_private_segment_buffer 1
		.amdhsa_user_sgpr_dispatch_ptr 0
		.amdhsa_user_sgpr_queue_ptr 0
		.amdhsa_user_sgpr_kernarg_segment_ptr 1
		.amdhsa_user_sgpr_dispatch_id 0
		.amdhsa_user_sgpr_flat_scratch_init 0
		.amdhsa_user_sgpr_private_segment_size 0
		.amdhsa_uses_dynamic_stack 0
		.amdhsa_system_sgpr_private_segment_wavefront_offset 0
		.amdhsa_system_sgpr_workgroup_id_x 1
		.amdhsa_system_sgpr_workgroup_id_y 0
		.amdhsa_system_sgpr_workgroup_id_z 0
		.amdhsa_system_sgpr_workgroup_info 0
		.amdhsa_system_vgpr_workitem_id 0
		.amdhsa_next_free_vgpr 250
		.amdhsa_next_free_sgpr 42
		.amdhsa_reserve_vcc 1
		.amdhsa_reserve_flat_scratch 0
		.amdhsa_float_round_mode_32 0
		.amdhsa_float_round_mode_16_64 0
		.amdhsa_float_denorm_mode_32 3
		.amdhsa_float_denorm_mode_16_64 3
		.amdhsa_dx10_clamp 1
		.amdhsa_ieee_mode 1
		.amdhsa_fp16_overflow 0
		.amdhsa_exception_fp_ieee_invalid_op 0
		.amdhsa_exception_fp_denorm_src 0
		.amdhsa_exception_fp_ieee_div_zero 0
		.amdhsa_exception_fp_ieee_overflow 0
		.amdhsa_exception_fp_ieee_underflow 0
		.amdhsa_exception_fp_ieee_inexact 0
		.amdhsa_exception_int_div_zero 0
	.end_amdhsa_kernel
	.text
.Lfunc_end0:
	.size	bluestein_single_back_len1452_dim1_dp_op_CI_CI, .Lfunc_end0-bluestein_single_back_len1452_dim1_dp_op_CI_CI
                                        ; -- End function
	.section	.AMDGPU.csdata,"",@progbits
; Kernel info:
; codeLenInByte = 18884
; NumSgprs: 46
; NumVgprs: 250
; ScratchSize: 0
; MemoryBound: 0
; FloatMode: 240
; IeeeMode: 1
; LDSByteSize: 23232 bytes/workgroup (compile time only)
; SGPRBlocks: 5
; VGPRBlocks: 62
; NumSGPRsForWavesPerEU: 46
; NumVGPRsForWavesPerEU: 250
; Occupancy: 1
; WaveLimiterHint : 1
; COMPUTE_PGM_RSRC2:SCRATCH_EN: 0
; COMPUTE_PGM_RSRC2:USER_SGPR: 6
; COMPUTE_PGM_RSRC2:TRAP_HANDLER: 0
; COMPUTE_PGM_RSRC2:TGID_X_EN: 1
; COMPUTE_PGM_RSRC2:TGID_Y_EN: 0
; COMPUTE_PGM_RSRC2:TGID_Z_EN: 0
; COMPUTE_PGM_RSRC2:TIDIG_COMP_CNT: 0
	.type	__hip_cuid_3a94949310af5d84,@object ; @__hip_cuid_3a94949310af5d84
	.section	.bss,"aw",@nobits
	.globl	__hip_cuid_3a94949310af5d84
__hip_cuid_3a94949310af5d84:
	.byte	0                               ; 0x0
	.size	__hip_cuid_3a94949310af5d84, 1

	.ident	"AMD clang version 19.0.0git (https://github.com/RadeonOpenCompute/llvm-project roc-6.4.0 25133 c7fe45cf4b819c5991fe208aaa96edf142730f1d)"
	.section	".note.GNU-stack","",@progbits
	.addrsig
	.addrsig_sym __hip_cuid_3a94949310af5d84
	.amdgpu_metadata
---
amdhsa.kernels:
  - .args:
      - .actual_access:  read_only
        .address_space:  global
        .offset:         0
        .size:           8
        .value_kind:     global_buffer
      - .actual_access:  read_only
        .address_space:  global
        .offset:         8
        .size:           8
        .value_kind:     global_buffer
      - .actual_access:  read_only
        .address_space:  global
        .offset:         16
        .size:           8
        .value_kind:     global_buffer
      - .actual_access:  read_only
        .address_space:  global
        .offset:         24
        .size:           8
        .value_kind:     global_buffer
      - .actual_access:  read_only
        .address_space:  global
        .offset:         32
        .size:           8
        .value_kind:     global_buffer
      - .offset:         40
        .size:           8
        .value_kind:     by_value
      - .address_space:  global
        .offset:         48
        .size:           8
        .value_kind:     global_buffer
      - .address_space:  global
        .offset:         56
        .size:           8
        .value_kind:     global_buffer
      - .address_space:  global
        .offset:         64
        .size:           8
        .value_kind:     global_buffer
      - .address_space:  global
        .offset:         72
        .size:           8
        .value_kind:     global_buffer
      - .offset:         80
        .size:           4
        .value_kind:     by_value
      - .address_space:  global
        .offset:         88
        .size:           8
        .value_kind:     global_buffer
      - .address_space:  global
        .offset:         96
        .size:           8
        .value_kind:     global_buffer
    .group_segment_fixed_size: 23232
    .kernarg_segment_align: 8
    .kernarg_segment_size: 104
    .language:       OpenCL C
    .language_version:
      - 2
      - 0
    .max_flat_workgroup_size: 132
    .name:           bluestein_single_back_len1452_dim1_dp_op_CI_CI
    .private_segment_fixed_size: 0
    .sgpr_count:     46
    .sgpr_spill_count: 0
    .symbol:         bluestein_single_back_len1452_dim1_dp_op_CI_CI.kd
    .uniform_work_group_size: 1
    .uses_dynamic_stack: false
    .vgpr_count:     250
    .vgpr_spill_count: 0
    .wavefront_size: 64
amdhsa.target:   amdgcn-amd-amdhsa--gfx906
amdhsa.version:
  - 1
  - 2
...

	.end_amdgpu_metadata
